;; amdgpu-corpus repo=ROCm/rocFFT kind=compiled arch=gfx1201 opt=O3
	.text
	.amdgcn_target "amdgcn-amd-amdhsa--gfx1201"
	.amdhsa_code_object_version 6
	.protected	bluestein_single_back_len65_dim1_dp_op_CI_CI ; -- Begin function bluestein_single_back_len65_dim1_dp_op_CI_CI
	.globl	bluestein_single_back_len65_dim1_dp_op_CI_CI
	.p2align	8
	.type	bluestein_single_back_len65_dim1_dp_op_CI_CI,@function
bluestein_single_back_len65_dim1_dp_op_CI_CI: ; @bluestein_single_back_len65_dim1_dp_op_CI_CI
; %bb.0:
	s_load_b128 s[8:11], s[0:1], 0x28
	v_mul_u32_u24_e32 v1, 0x13b2, v0
	s_mov_b32 s2, exec_lo
	s_delay_alu instid0(VALU_DEP_1) | instskip(NEXT) | instid1(VALU_DEP_1)
	v_lshrrev_b32_e32 v1, 16, v1
	v_mad_co_u64_u32 v[84:85], null, ttmp9, 19, v[1:2]
	v_mov_b32_e32 v85, 0
	s_wait_kmcnt 0x0
	s_delay_alu instid0(VALU_DEP_1)
	v_cmpx_gt_u64_e64 s[8:9], v[84:85]
	s_cbranch_execz .LBB0_15
; %bb.1:
	v_mul_hi_u32 v2, 0xaf286bcb, v84
	v_mul_lo_u16 v1, v1, 13
	s_clause 0x1
	s_load_b64 s[12:13], s[0:1], 0x0
	s_load_b64 s[8:9], s[0:1], 0x38
	s_delay_alu instid0(VALU_DEP_1) | instskip(NEXT) | instid1(VALU_DEP_3)
	v_sub_nc_u16 v0, v0, v1
	v_sub_nc_u32_e32 v3, v84, v2
	s_delay_alu instid0(VALU_DEP_2) | instskip(SKIP_1) | instid1(VALU_DEP_3)
	v_and_b32_e32 v207, 0xffff, v0
	v_cmp_gt_u16_e32 vcc_lo, 5, v0
	v_lshrrev_b32_e32 v3, 1, v3
	s_delay_alu instid0(VALU_DEP_3) | instskip(SKIP_1) | instid1(VALU_DEP_3)
	v_lshlrev_b32_e32 v208, 4, v207
	v_or_b32_e32 v205, 40, v207
	v_add_nc_u32_e32 v2, v3, v2
	s_delay_alu instid0(VALU_DEP_1) | instskip(NEXT) | instid1(VALU_DEP_1)
	v_lshrrev_b32_e32 v2, 4, v2
	v_mul_lo_u32 v2, v2, 19
	s_delay_alu instid0(VALU_DEP_1) | instskip(NEXT) | instid1(VALU_DEP_1)
	v_sub_nc_u32_e32 v1, v84, v2
	v_mul_u32_u24_e32 v206, 0x41, v1
	s_delay_alu instid0(VALU_DEP_1)
	v_lshlrev_b32_e32 v209, 4, v206
	s_and_saveexec_b32 s3, vcc_lo
	s_cbranch_execz .LBB0_3
; %bb.2:
	s_load_b64 s[4:5], s[0:1], 0x18
	s_wait_kmcnt 0x0
	s_load_b128 s[4:7], s[4:5], 0x0
	s_wait_kmcnt 0x0
	v_mad_co_u64_u32 v[0:1], null, s6, v84, 0
	v_mad_co_u64_u32 v[2:3], null, s4, v207, 0
	;; [unrolled: 1-line block ×3, first 2 shown]
	s_delay_alu instid0(VALU_DEP_2) | instskip(SKIP_1) | instid1(VALU_DEP_1)
	v_mad_co_u64_u32 v[4:5], null, s7, v84, v[1:2]
	s_mul_u64 s[6:7], s[4:5], 0x50
	v_mad_co_u64_u32 v[5:6], null, s5, v207, v[3:4]
	v_mov_b32_e32 v1, v4
	s_delay_alu instid0(VALU_DEP_1) | instskip(NEXT) | instid1(VALU_DEP_3)
	v_lshlrev_b64_e32 v[0:1], 4, v[0:1]
	v_mov_b32_e32 v3, v5
	s_delay_alu instid0(VALU_DEP_2) | instskip(NEXT) | instid1(VALU_DEP_2)
	v_add_co_u32 v26, s2, s10, v0
	v_lshlrev_b64_e32 v[2:3], 4, v[2:3]
	s_delay_alu instid0(VALU_DEP_4) | instskip(SKIP_1) | instid1(VALU_DEP_3)
	v_add_co_ci_u32_e64 v27, s2, s11, v1, s2
	v_mov_b32_e32 v0, v17
	v_add_co_u32 v44, s2, v26, v2
	s_wait_alu 0xf1ff
	s_delay_alu instid0(VALU_DEP_3) | instskip(NEXT) | instid1(VALU_DEP_3)
	v_add_co_ci_u32_e64 v45, s2, v27, v3, s2
	v_mad_co_u64_u32 v[8:9], null, s5, v205, v[0:1]
	s_wait_alu 0xfffe
	v_add_co_u32 v48, s2, v44, s6
	s_wait_alu 0xf1ff
	v_add_co_ci_u32_e64 v49, s2, s7, v45, s2
	s_clause 0x1
	global_load_b128 v[0:3], v208, s[12:13]
	global_load_b128 v[4:7], v208, s[12:13] offset:80
	v_add_co_u32 v52, s2, v48, s6
	s_wait_alu 0xf1ff
	v_add_co_ci_u32_e64 v53, s2, s7, v49, s2
	v_mov_b32_e32 v17, v8
	s_delay_alu instid0(VALU_DEP_3) | instskip(SKIP_1) | instid1(VALU_DEP_3)
	v_add_co_u32 v56, s2, v52, s6
	s_wait_alu 0xf1ff
	v_add_co_ci_u32_e64 v57, s2, s7, v53, s2
	s_delay_alu instid0(VALU_DEP_3) | instskip(NEXT) | instid1(VALU_DEP_3)
	v_lshlrev_b64_e32 v[24:25], 4, v[16:17]
	v_add_co_u32 v60, s2, v56, s6
	s_wait_alu 0xf1ff
	s_delay_alu instid0(VALU_DEP_3)
	v_add_co_ci_u32_e64 v61, s2, s7, v57, s2
	s_clause 0x1
	global_load_b128 v[8:11], v208, s[12:13] offset:160
	global_load_b128 v[12:15], v208, s[12:13] offset:240
	v_add_co_u32 v64, s2, v60, s6
	s_wait_alu 0xf1ff
	v_add_co_ci_u32_e64 v65, s2, s7, v61, s2
	s_clause 0x1
	global_load_b128 v[16:19], v208, s[12:13] offset:320
	global_load_b128 v[20:23], v208, s[12:13] offset:400
	v_add_co_u32 v68, s2, v64, s6
	s_wait_alu 0xf1ff
	v_add_co_ci_u32_e64 v69, s2, s7, v65, s2
	s_delay_alu instid0(VALU_DEP_2) | instskip(SKIP_1) | instid1(VALU_DEP_2)
	v_add_co_u32 v72, s2, v68, s6
	s_wait_alu 0xf1ff
	v_add_co_ci_u32_e64 v73, s2, s7, v69, s2
	v_add_co_u32 v40, s2, v26, v24
	s_wait_alu 0xf1ff
	v_add_co_ci_u32_e64 v41, s2, v27, v25, s2
	s_delay_alu instid0(VALU_DEP_3)
	v_mad_co_u64_u32 v[76:77], null, 0xa0, s4, v[72:73]
	s_clause 0x3
	global_load_b128 v[24:27], v208, s[12:13] offset:480
	global_load_b128 v[28:31], v208, s[12:13] offset:560
	;; [unrolled: 1-line block ×4, first 2 shown]
	global_load_b128 v[40:43], v[40:41], off
	v_mov_b32_e32 v46, v77
	v_add_co_u32 v80, s2, v76, s6
	s_delay_alu instid0(VALU_DEP_2)
	v_mad_co_u64_u32 v[74:75], null, 0xa0, s5, v[46:47]
	s_clause 0x4
	global_load_b128 v[44:47], v[44:45], off
	global_load_b128 v[48:51], v[48:49], off
	;; [unrolled: 1-line block ×7, first 2 shown]
	v_mov_b32_e32 v77, v74
	global_load_b128 v[72:75], v[72:73], off
	s_wait_alu 0xf1ff
	v_add_co_ci_u32_e64 v81, s2, s7, v77, s2
	v_add_co_u32 v93, s2, v80, s6
	global_load_b128 v[76:79], v[76:77], off
	s_wait_alu 0xf1ff
	v_add_co_ci_u32_e64 v94, s2, s7, v81, s2
	v_add_co_u32 v101, s2, v93, s6
	global_load_b128 v[80:83], v[80:81], off
	s_wait_alu 0xf1ff
	v_add_co_ci_u32_e64 v102, s2, s7, v94, s2
	s_clause 0x1
	global_load_b128 v[85:88], v208, s[12:13] offset:800
	global_load_b128 v[89:92], v208, s[12:13] offset:880
	global_load_b128 v[93:96], v[93:94], off
	global_load_b128 v[97:100], v208, s[12:13] offset:960
	global_load_b128 v[101:104], v[101:102], off
	s_wait_loadcnt 0xf
	v_mul_f64_e32 v[107:108], v[42:43], v[34:35]
	v_mul_f64_e32 v[34:35], v[40:41], v[34:35]
	s_wait_loadcnt 0xe
	v_mul_f64_e32 v[105:106], v[46:47], v[2:3]
	v_mul_f64_e32 v[2:3], v[44:45], v[2:3]
	;; [unrolled: 3-line block ×13, first 2 shown]
	v_fma_f64 v[44:45], v[44:45], v[0:1], v[105:106]
	v_fma_f64 v[46:47], v[46:47], v[0:1], -v[2:3]
	v_fma_f64 v[0:1], v[40:41], v[32:33], v[107:108]
	v_fma_f64 v[2:3], v[42:43], v[32:33], -v[34:35]
	;; [unrolled: 2-line block ×9, first 2 shown]
	v_lshl_add_u32 v28, v207, 4, v209
	v_add_nc_u32_e32 v29, v209, v208
	v_fma_f64 v[34:35], v[76:77], v[36:37], v[125:126]
	v_fma_f64 v[36:37], v[78:79], v[36:37], -v[38:39]
	v_fma_f64 v[38:39], v[80:81], v[85:86], v[127:128]
	v_fma_f64 v[40:41], v[82:83], v[85:86], -v[87:88]
	;; [unrolled: 2-line block ×4, first 2 shown]
	ds_store_b128 v28, v[44:47]
	ds_store_b128 v29, v[30:33] offset:80
	ds_store_b128 v29, v[4:7] offset:160
	ds_store_b128 v29, v[8:11] offset:240
	ds_store_b128 v29, v[12:15] offset:320
	ds_store_b128 v29, v[16:19] offset:400
	ds_store_b128 v29, v[20:23] offset:480
	ds_store_b128 v29, v[24:27] offset:560
	ds_store_b128 v29, v[0:3] offset:640
	ds_store_b128 v29, v[34:37] offset:720
	ds_store_b128 v29, v[38:41] offset:800
	ds_store_b128 v29, v[48:51] offset:880
	ds_store_b128 v29, v[52:55] offset:960
.LBB0_3:
	s_or_b32 exec_lo, exec_lo, s3
	s_clause 0x1
	s_load_b64 s[2:3], s[0:1], 0x20
	s_load_b64 s[4:5], s[0:1], 0x8
	global_wb scope:SCOPE_SE
	s_wait_dscnt 0x0
	s_wait_kmcnt 0x0
	s_barrier_signal -1
	s_barrier_wait -1
	global_inv scope:SCOPE_SE
                                        ; implicit-def: $vgpr74_vgpr75
                                        ; implicit-def: $vgpr66_vgpr67
                                        ; implicit-def: $vgpr62_vgpr63
                                        ; implicit-def: $vgpr54_vgpr55
                                        ; implicit-def: $vgpr6_vgpr7
                                        ; implicit-def: $vgpr80_vgpr81
                                        ; implicit-def: $vgpr76_vgpr77
                                        ; implicit-def: $vgpr68_vgpr69
                                        ; implicit-def: $vgpr56_vgpr57
                                        ; implicit-def: $vgpr48_vgpr49
                                        ; implicit-def: $vgpr16_vgpr17
                                        ; implicit-def: $vgpr8_vgpr9
                                        ; implicit-def: $vgpr12_vgpr13
	s_and_saveexec_b32 s0, vcc_lo
	s_cbranch_execz .LBB0_5
; %bb.4:
	v_lshl_add_u32 v0, v206, 4, v208
	ds_load_b128 v[4:7], v0
	ds_load_b128 v[52:55], v0 offset:80
	ds_load_b128 v[60:63], v0 offset:160
	;; [unrolled: 1-line block ×12, first 2 shown]
.LBB0_5:
	s_wait_alu 0xfffe
	s_or_b32 exec_lo, exec_lo, s0
	s_wait_dscnt 0x0
	v_add_f64_e64 v[2:3], v[54:55], -v[14:15]
	v_add_f64_e64 v[0:1], v[52:53], -v[12:13]
	s_mov_b32 s1, 0xbfddbe06
	s_mov_b32 s0, 0x4267c47c
	v_add_f64_e32 v[85:86], v[52:53], v[12:13]
	v_add_f64_e32 v[87:88], v[54:55], v[14:15]
	v_add_f64_e64 v[20:21], v[62:63], -v[10:11]
	v_add_f64_e64 v[22:23], v[60:61], -v[8:9]
	s_mov_b32 s20, 0x42a4c3d2
	s_mov_b32 s6, 0xe00740e9
	s_mov_b32 s21, 0xbfea55e2
	s_mov_b32 s7, 0x3fec55a7
	v_add_f64_e32 v[107:108], v[60:61], v[8:9]
	v_add_f64_e32 v[117:118], v[62:63], v[10:11]
	v_add_f64_e64 v[34:35], v[66:67], -v[18:19]
	v_add_f64_e64 v[36:37], v[64:65], -v[16:17]
	s_mov_b32 s10, 0x1ea71119
	s_mov_b32 s30, 0x66966769
	;; [unrolled: 8-line block ×3, first 2 shown]
	s_mov_b32 s16, 0xebaa3ed8
	s_mov_b32 s26, 0x24c2f84
	;; [unrolled: 1-line block ×6, first 2 shown]
	v_add_f64_e32 v[109:110], v[72:73], v[48:49]
	v_add_f64_e32 v[111:112], v[74:75], v[50:51]
	s_mov_b32 s18, 0xb2365da1
	s_mov_b32 s14, 0x93053d00
	;; [unrolled: 1-line block ×4, first 2 shown]
	s_wait_alu 0xfffe
	v_mul_f64_e32 v[89:90], s[0:1], v[2:3]
	v_mul_f64_e32 v[91:92], s[0:1], v[0:1]
	;; [unrolled: 1-line block ×17, first 2 shown]
	s_mov_b32 s37, 0x3fe5384d
	s_mov_b32 s15, 0xbfef11f4
	;; [unrolled: 1-line block ×5, first 2 shown]
	v_mul_f64_e32 v[101:102], s[24:25], v[38:39]
	v_mul_f64_e32 v[103:104], s[24:25], v[32:33]
	s_mov_b32 s36, s26
	s_mov_b32 s28, s30
	;; [unrolled: 1-line block ×4, first 2 shown]
	v_add_f64_e32 v[105:106], v[80:81], v[56:57]
	v_add_f64_e32 v[119:120], v[82:83], v[58:59]
	v_mul_f64_e32 v[149:150], s[34:35], v[34:35]
	v_mul_f64_e32 v[151:152], s[34:35], v[36:37]
	;; [unrolled: 1-line block ×7, first 2 shown]
	s_wait_alu 0xfffe
	v_mul_f64_e32 v[20:21], s[0:1], v[20:21]
	v_fma_f64 v[24:25], v[85:86], s[6:7], v[89:90]
	v_fma_f64 v[26:27], v[87:88], s[6:7], -v[91:92]
	v_fma_f64 v[171:172], v[85:86], s[10:11], v[121:122]
	v_fma_f64 v[173:174], v[87:88], s[10:11], -v[123:124]
	;; [unrolled: 2-line block ×6, first 2 shown]
	v_mul_f64_e32 v[157:158], s[42:43], v[34:35]
	v_mul_f64_e32 v[22:23], s[0:1], v[22:23]
	v_fma_f64 v[44:45], v[113:114], s[16:17], v[93:94]
	v_fma_f64 v[141:142], v[115:116], s[16:17], -v[95:96]
	v_fma_f64 v[199:200], v[87:88], s[14:15], v[0:1]
	v_fma_f64 v[0:1], v[87:88], s[14:15], -v[0:1]
	;; [unrolled: 2-line block ×3, first 2 shown]
	v_fma_f64 v[218:219], v[107:108], s[14:15], v[161:162]
	v_add_f64_e32 v[127:128], v[76:77], v[68:69]
	v_fma_f64 v[179:180], v[109:110], s[18:19], v[101:102]
	v_add_f64_e32 v[129:130], v[78:79], v[70:71]
	v_mul_f64_e32 v[145:146], s[36:37], v[38:39]
	v_mul_f64_e32 v[147:148], s[36:37], v[32:33]
	;; [unrolled: 1-line block ×9, first 2 shown]
	v_fma_f64 v[226:227], v[107:108], s[22:23], v[169:170]
	v_fma_f64 v[228:229], v[117:118], s[22:23], -v[175:176]
	v_fma_f64 v[230:231], v[107:108], s[16:17], -v[187:188]
	v_fma_f64 v[232:233], v[117:118], s[16:17], v[191:192]
	v_fma_f64 v[187:188], v[107:108], s[16:17], v[187:188]
	v_add_f64_e32 v[30:31], v[4:5], v[24:25]
	v_add_f64_e32 v[42:43], v[6:7], v[26:27]
	v_add_f64_e64 v[26:27], v[82:83], -v[58:59]
	v_add_f64_e64 v[24:25], v[80:81], -v[56:57]
	v_add_f64_e32 v[212:213], v[4:5], v[171:172]
	v_add_f64_e32 v[216:217], v[6:7], v[173:174]
	;; [unrolled: 1-line block ×7, first 2 shown]
	v_fma_f64 v[191:192], v[117:118], s[16:17], -v[191:192]
	v_add_f64_e32 v[195:196], v[6:7], v[195:196]
	v_fma_f64 v[234:235], v[107:108], s[6:7], -v[20:21]
	v_fma_f64 v[236:237], v[117:118], s[6:7], v[22:23]
	v_fma_f64 v[20:21], v[107:108], s[6:7], v[20:21]
	v_add_f64_e32 v[199:200], v[6:7], v[199:200]
	v_mul_f64_e32 v[177:178], s[0:1], v[38:39]
	v_fma_f64 v[22:23], v[117:118], s[6:7], -v[22:23]
	v_add_f64_e32 v[0:1], v[6:7], v[0:1]
	s_mov_b32 s41, 0x3fcea1e5
	s_mov_b32 s39, 0x3fea55e2
	;; [unrolled: 1-line block ×4, first 2 shown]
	v_mul_f64_e32 v[171:172], s[30:31], v[38:39]
	v_mul_f64_e32 v[173:174], s[30:31], v[32:33]
	;; [unrolled: 1-line block ×3, first 2 shown]
	v_fma_f64 v[240:241], v[115:116], s[18:19], -v[159:160]
	v_fma_f64 v[246:247], v[113:114], s[10:11], -v[201:202]
	v_fma_f64 v[242:243], v[113:114], s[6:7], v[165:166]
	v_fma_f64 v[244:245], v[115:116], s[6:7], -v[167:168]
	v_mul_f64_e32 v[248:249], s[40:41], v[32:33]
	v_fma_f64 v[201:202], v[113:114], s[10:11], v[201:202]
	v_mul_f64_e32 v[38:39], s[38:39], v[38:39]
	v_fma_f64 v[250:251], v[113:114], s[22:23], -v[34:35]
	v_fma_f64 v[34:35], v[113:114], s[22:23], v[34:35]
	global_wb scope:SCOPE_SE
	s_barrier_signal -1
	v_add_f64_e32 v[46:47], v[28:29], v[30:31]
	v_add_f64_e32 v[40:41], v[40:41], v[42:43]
	v_mul_f64_e32 v[42:43], s[26:27], v[2:3]
	v_mul_f64_e32 v[2:3], s[34:35], v[2:3]
	v_add_f64_e64 v[28:29], v[78:79], -v[70:71]
	v_add_f64_e64 v[30:31], v[76:77], -v[68:69]
	v_mul_f64_e32 v[137:138], s[26:27], v[26:27]
	v_mul_f64_e32 v[139:140], s[26:27], v[24:25]
	v_add_f64_e32 v[210:211], v[210:211], v[212:213]
	v_fma_f64 v[212:213], v[113:114], s[14:15], v[149:150]
	v_add_f64_e32 v[214:215], v[214:215], v[216:217]
	v_fma_f64 v[216:217], v[115:116], s[14:15], -v[151:152]
	v_add_f64_e32 v[218:219], v[218:219], v[220:221]
	v_fma_f64 v[220:221], v[113:114], s[18:19], v[157:158]
	v_add_f64_e32 v[226:227], v[226:227], v[183:184]
	v_add_f64_e32 v[228:229], v[228:229], v[185:186]
	;; [unrolled: 1-line block ×3, first 2 shown]
	v_fma_f64 v[232:233], v[115:116], s[10:11], v[203:204]
	v_fma_f64 v[203:204], v[115:116], s[10:11], -v[203:204]
	v_add_f64_e32 v[195:196], v[191:192], v[195:196]
	v_add_f64_e32 v[199:200], v[236:237], v[199:200]
	;; [unrolled: 1-line block ×3, first 2 shown]
	v_fma_f64 v[236:237], v[109:110], s[22:23], v[145:146]
	v_mul_f64_e32 v[185:186], s[20:21], v[26:27]
	v_mul_f64_e32 v[183:184], s[28:29], v[24:25]
	;; [unrolled: 1-line block ×3, first 2 shown]
	s_barrier_wait -1
	global_inv scope:SCOPE_SE
	v_add_f64_e32 v[44:45], v[44:45], v[46:47]
	v_fma_f64 v[46:47], v[111:112], s[18:19], -v[103:104]
	v_add_f64_e32 v[40:41], v[141:142], v[40:41]
	v_fma_f64 v[189:190], v[85:86], s[22:23], -v[42:43]
	v_fma_f64 v[42:43], v[85:86], s[22:23], v[42:43]
	v_fma_f64 v[197:198], v[85:86], s[14:15], -v[2:3]
	v_fma_f64 v[2:3], v[85:86], s[14:15], v[2:3]
	v_mul_f64_e32 v[141:142], s[34:35], v[28:29]
	v_mul_f64_e32 v[143:144], s[34:35], v[30:31]
	v_fma_f64 v[222:223], v[105:106], s[22:23], v[137:138]
	v_fma_f64 v[224:225], v[119:120], s[22:23], -v[139:140]
	v_add_f64_e32 v[210:211], v[212:213], v[210:211]
	v_fma_f64 v[212:213], v[111:112], s[22:23], -v[147:148]
	v_add_f64_e32 v[214:215], v[216:217], v[214:215]
	v_add_f64_e32 v[216:217], v[220:221], v[218:219]
	v_fma_f64 v[218:219], v[109:110], s[6:7], v[177:178]
	v_add_f64_e32 v[220:221], v[244:245], v[228:229]
	v_add_f64_e32 v[228:229], v[232:233], v[193:194]
	v_mul_f64_e32 v[232:233], s[0:1], v[26:27]
	v_add_f64_e32 v[203:204], v[203:204], v[195:196]
	v_fma_f64 v[244:245], v[109:110], s[10:11], -v[38:39]
	v_fma_f64 v[38:39], v[109:110], s[10:11], v[38:39]
	v_mul_f64_e32 v[193:194], s[26:27], v[28:29]
	v_mul_f64_e32 v[195:196], s[26:27], v[30:31]
	v_add_f64_e32 v[44:45], v[179:180], v[44:45]
	v_mul_f64_e32 v[179:180], s[0:1], v[32:33]
	v_add_f64_e32 v[40:41], v[46:47], v[40:41]
	v_fma_f64 v[46:47], v[117:118], s[14:15], -v[163:164]
	v_add_f64_e32 v[189:190], v[4:5], v[189:190]
	v_add_f64_e32 v[42:43], v[4:5], v[42:43]
	;; [unrolled: 1-line block ×4, first 2 shown]
	v_mul_f64_e32 v[32:33], s[38:39], v[32:33]
	v_add_f64_e32 v[210:211], v[236:237], v[210:211]
	v_fma_f64 v[236:237], v[119:120], s[16:17], -v[183:184]
	v_add_f64_e32 v[212:213], v[212:213], v[214:215]
	v_fma_f64 v[214:215], v[105:106], s[10:11], v[185:186]
	v_add_f64_e32 v[216:217], v[218:219], v[216:217]
	v_add_f64_e32 v[44:45], v[222:223], v[44:45]
	v_fma_f64 v[222:223], v[127:128], s[14:15], v[141:142]
	v_add_f64_e32 v[40:41], v[224:225], v[40:41]
	v_fma_f64 v[224:225], v[129:130], s[14:15], -v[143:144]
	v_add_f64_e32 v[46:47], v[46:47], v[181:182]
	v_add_f64_e32 v[230:231], v[230:231], v[189:190]
	;; [unrolled: 1-line block ×4, first 2 shown]
	v_fma_f64 v[234:235], v[115:116], s[22:23], v[36:37]
	v_add_f64_e32 v[20:21], v[20:21], v[2:3]
	v_fma_f64 v[36:37], v[115:116], s[22:23], -v[36:37]
	v_mul_f64_e32 v[181:182], s[28:29], v[26:27]
	v_mul_f64_e32 v[187:188], s[20:21], v[24:25]
	;; [unrolled: 1-line block ×4, first 2 shown]
	v_add_f64_e32 v[214:215], v[214:215], v[216:217]
	v_add_f64_e32 v[212:213], v[236:237], v[212:213]
	;; [unrolled: 1-line block ×6, first 2 shown]
	v_fma_f64 v[46:47], v[111:112], s[6:7], -v[179:180]
	v_fma_f64 v[222:223], v[109:110], s[16:17], v[171:172]
	v_add_f64_e32 v[224:225], v[246:247], v[230:231]
	v_fma_f64 v[226:227], v[111:112], s[16:17], -v[173:174]
	v_fma_f64 v[230:231], v[109:110], s[14:15], -v[238:239]
	v_add_f64_e32 v[42:43], v[201:202], v[42:43]
	v_fma_f64 v[201:202], v[111:112], s[14:15], v[248:249]
	v_fma_f64 v[238:239], v[109:110], s[14:15], v[238:239]
	v_fma_f64 v[240:241], v[111:112], s[14:15], -v[248:249]
	v_add_f64_e32 v[242:243], v[250:251], v[197:198]
	v_add_f64_e32 v[234:235], v[234:235], v[199:200]
	v_fma_f64 v[246:247], v[111:112], s[10:11], v[32:33]
	v_add_f64_e32 v[20:21], v[34:35], v[20:21]
	v_mul_f64_e32 v[34:35], s[0:1], v[24:25]
	v_fma_f64 v[32:33], v[111:112], s[10:11], -v[32:33]
	v_add_f64_e32 v[22:23], v[36:37], v[22:23]
	v_fma_f64 v[36:37], v[105:106], s[16:17], v[181:182]
	v_mul_f64_e32 v[24:25], s[24:25], v[24:25]
	v_mul_f64_e32 v[197:198], s[38:39], v[28:29]
	;; [unrolled: 1-line block ×3, first 2 shown]
	v_add_f64_e32 v[40:41], v[46:47], v[40:41]
	v_add_f64_e32 v[44:45], v[222:223], v[44:45]
	;; [unrolled: 1-line block ×4, first 2 shown]
	v_mul_f64_e32 v[220:221], s[24:25], v[28:29]
	v_add_f64_e32 v[222:223], v[201:202], v[228:229]
	v_mul_f64_e32 v[201:202], s[0:1], v[28:29]
	v_add_f64_e32 v[42:43], v[238:239], v[42:43]
	v_fma_f64 v[224:225], v[119:120], s[10:11], -v[187:188]
	v_add_f64_e32 v[226:227], v[240:241], v[203:204]
	v_fma_f64 v[228:229], v[105:106], s[14:15], v[189:190]
	v_add_f64_e32 v[230:231], v[244:245], v[242:243]
	v_fma_f64 v[238:239], v[119:120], s[14:15], -v[191:192]
	v_add_f64_e32 v[234:235], v[246:247], v[234:235]
	v_fma_f64 v[240:241], v[105:106], s[6:7], -v[232:233]
	v_add_f64_e32 v[20:21], v[38:39], v[20:21]
	v_fma_f64 v[38:39], v[119:120], s[6:7], v[34:35]
	v_add_f64_e32 v[22:23], v[32:33], v[22:23]
	v_mul_f64_e32 v[203:204], s[0:1], v[30:31]
	v_fma_f64 v[32:33], v[105:106], s[6:7], v[232:233]
	v_fma_f64 v[34:35], v[119:120], s[6:7], -v[34:35]
	v_add_f64_e32 v[36:37], v[36:37], v[210:211]
	v_fma_f64 v[210:211], v[105:106], s[18:19], -v[26:27]
	v_mul_f64_e32 v[232:233], s[24:25], v[30:31]
	v_fma_f64 v[216:217], v[119:120], s[18:19], v[24:25]
	v_mul_f64_e32 v[28:29], s[28:29], v[28:29]
	v_fma_f64 v[26:27], v[105:106], s[18:19], v[26:27]
	v_fma_f64 v[24:25], v[119:120], s[18:19], -v[24:25]
	v_mul_f64_e32 v[30:31], s[28:29], v[30:31]
	v_fma_f64 v[236:237], v[127:128], s[10:11], v[197:198]
	v_add_f64_e32 v[40:41], v[224:225], v[40:41]
	v_fma_f64 v[224:225], v[127:128], s[22:23], v[193:194]
	v_add_f64_e32 v[44:45], v[228:229], v[44:45]
	v_fma_f64 v[228:229], v[129:130], s[22:23], -v[195:196]
	v_add_f64_e32 v[46:47], v[238:239], v[46:47]
	v_fma_f64 v[238:239], v[129:130], s[10:11], -v[199:200]
	v_add_f64_e32 v[218:219], v[240:241], v[218:219]
	v_add_f64_e32 v[38:39], v[38:39], v[222:223]
	v_fma_f64 v[222:223], v[127:128], s[6:7], v[201:202]
	v_add_f64_e32 v[32:33], v[32:33], v[42:43]
	v_fma_f64 v[42:43], v[129:130], s[6:7], -v[203:204]
	v_add_f64_e32 v[34:35], v[34:35], v[226:227]
	v_fma_f64 v[226:227], v[127:128], s[18:19], -v[220:221]
	v_add_f64_e32 v[210:211], v[210:211], v[230:231]
	v_fma_f64 v[230:231], v[129:130], s[18:19], v[232:233]
	v_fma_f64 v[220:221], v[127:128], s[18:19], v[220:221]
	v_fma_f64 v[232:233], v[129:130], s[18:19], -v[232:233]
	v_add_f64_e32 v[216:217], v[216:217], v[234:235]
	v_fma_f64 v[234:235], v[127:128], s[16:17], -v[28:29]
	v_add_f64_e32 v[240:241], v[26:27], v[20:21]
	v_add_f64_e32 v[242:243], v[24:25], v[22:23]
	v_fma_f64 v[244:245], v[129:130], s[16:17], v[30:31]
	v_fma_f64 v[246:247], v[127:128], s[16:17], v[28:29]
	v_fma_f64 v[248:249], v[129:130], s[16:17], -v[30:31]
	v_add_f64_e32 v[24:25], v[224:225], v[214:215]
	v_add_f64_e32 v[28:29], v[236:237], v[44:45]
	;; [unrolled: 1-line block ×11, first 2 shown]
	v_mul_lo_u16 v210, v207, 13
	v_add_f64_e32 v[46:47], v[244:245], v[216:217]
	v_add_f64_e32 v[40:41], v[246:247], v[240:241]
	v_add_f64_e32 v[42:43], v[248:249], v[242:243]
	s_and_saveexec_b32 s0, vcc_lo
	s_cbranch_execz .LBB0_7
; %bb.6:
	v_add_f64_e32 v[54:55], v[54:55], v[6:7]
	v_add_f64_e32 v[52:53], v[52:53], v[4:5]
	v_mul_f64_e32 v[215:216], s[18:19], v[117:118]
	v_mul_f64_e32 v[217:218], s[18:19], v[107:108]
	;; [unrolled: 1-line block ×4, first 2 shown]
	v_add_f64_e32 v[54:55], v[62:63], v[54:55]
	v_add_f64_e32 v[52:53], v[60:61], v[52:53]
	v_mul_f64_e32 v[60:61], s[18:19], v[87:88]
	v_mul_f64_e32 v[62:63], s[18:19], v[85:86]
	s_delay_alu instid0(VALU_DEP_4) | instskip(NEXT) | instid1(VALU_DEP_4)
	v_add_f64_e32 v[54:55], v[66:67], v[54:55]
	v_add_f64_e32 v[52:53], v[64:65], v[52:53]
	v_mul_f64_e32 v[66:67], s[10:11], v[87:88]
	v_mul_f64_e32 v[64:65], s[16:17], v[87:88]
	;; [unrolled: 1-line block ×3, first 2 shown]
	v_add_f64_e32 v[60:61], v[135:136], v[60:61]
	v_add_f64_e64 v[62:63], v[62:63], -v[133:134]
	v_add_f64_e32 v[133:134], v[155:156], v[215:216]
	v_add_f64_e64 v[135:136], v[217:218], -v[153:154]
	v_add_f64_e32 v[54:55], v[74:75], v[54:55]
	v_add_f64_e32 v[52:53], v[72:73], v[52:53]
	v_mul_f64_e32 v[72:73], s[10:11], v[85:86]
	v_mul_f64_e32 v[74:75], s[16:17], v[85:86]
	v_add_f64_e32 v[66:67], v[123:124], v[66:67]
	v_add_f64_e32 v[64:65], v[131:132], v[64:65]
	;; [unrolled: 1-line block ×3, first 2 shown]
	v_mul_f64_e32 v[91:92], s[14:15], v[115:116]
	v_mul_f64_e32 v[123:124], s[18:19], v[115:116]
	v_add_f64_e64 v[131:132], v[213:214], -v[161:162]
	v_add_f64_e32 v[60:61], v[6:7], v[60:61]
	v_add_f64_e32 v[62:63], v[4:5], v[62:63]
	;; [unrolled: 1-line block ×4, first 2 shown]
	v_mul_f64_e32 v[80:81], s[6:7], v[85:86]
	v_add_f64_e64 v[72:73], v[72:73], -v[121:122]
	v_add_f64_e64 v[74:75], v[74:75], -v[125:126]
	v_mul_f64_e32 v[82:83], s[22:23], v[117:118]
	v_mul_f64_e32 v[85:86], s[22:23], v[107:108]
	;; [unrolled: 1-line block ×4, first 2 shown]
	v_add_f64_e32 v[66:67], v[6:7], v[66:67]
	v_mul_f64_e32 v[121:122], s[18:19], v[113:114]
	v_add_f64_e32 v[125:126], v[163:164], v[211:212]
	v_add_f64_e32 v[64:65], v[6:7], v[64:65]
	v_add_f64_e32 v[6:7], v[6:7], v[87:88]
	v_mul_f64_e32 v[87:88], s[22:23], v[111:112]
	v_add_f64_e32 v[91:92], v[151:152], v[91:92]
	v_add_f64_e32 v[123:124], v[159:160], v[123:124]
	;; [unrolled: 1-line block ×4, first 2 shown]
	v_add_f64_e64 v[76:77], v[80:81], -v[89:90]
	v_mul_f64_e32 v[89:90], s[14:15], v[113:114]
	v_add_f64_e32 v[72:73], v[4:5], v[72:73]
	v_add_f64_e32 v[74:75], v[4:5], v[74:75]
	v_mul_f64_e32 v[78:79], s[16:17], v[113:114]
	v_mul_f64_e32 v[80:81], s[16:17], v[115:116]
	;; [unrolled: 1-line block ×4, first 2 shown]
	v_add_f64_e32 v[82:83], v[175:176], v[82:83]
	v_add_f64_e64 v[85:86], v[85:86], -v[169:170]
	v_add_f64_e32 v[99:100], v[99:100], v[117:118]
	v_add_f64_e64 v[97:98], v[107:108], -v[97:98]
	v_add_f64_e32 v[66:67], v[133:134], v[66:67]
	v_mul_f64_e32 v[107:108], s[6:7], v[109:110]
	v_mul_f64_e32 v[117:118], s[6:7], v[111:112]
	v_add_f64_e64 v[121:122], v[121:122], -v[157:158]
	v_add_f64_e32 v[64:65], v[125:126], v[64:65]
	v_add_f64_e32 v[87:88], v[147:148], v[87:88]
	;; [unrolled: 1-line block ×5, first 2 shown]
	v_mul_f64_e32 v[76:77], s[22:23], v[109:110]
	v_add_f64_e64 v[89:90], v[89:90], -v[149:150]
	v_add_f64_e32 v[72:73], v[135:136], v[72:73]
	v_mul_f64_e32 v[70:71], s[18:19], v[111:112]
	v_mul_f64_e32 v[111:112], s[16:17], v[111:112]
	v_add_f64_e32 v[74:75], v[131:132], v[74:75]
	v_mul_f64_e32 v[68:69], s[18:19], v[109:110]
	v_mul_f64_e32 v[109:110], s[16:17], v[109:110]
	v_add_f64_e32 v[115:116], v[167:168], v[115:116]
	v_add_f64_e64 v[113:114], v[113:114], -v[165:166]
	v_add_f64_e32 v[60:61], v[82:83], v[60:61]
	v_add_f64_e32 v[62:63], v[85:86], v[62:63]
	;; [unrolled: 1-line block ×3, first 2 shown]
	v_add_f64_e64 v[78:79], v[78:79], -v[93:94]
	v_add_f64_e32 v[6:7], v[99:100], v[6:7]
	v_mul_f64_e32 v[82:83], s[16:17], v[105:106]
	v_mul_f64_e32 v[85:86], s[16:17], v[119:120]
	v_add_f64_e32 v[66:67], v[91:92], v[66:67]
	v_mul_f64_e32 v[93:94], s[10:11], v[105:106]
	v_mul_f64_e32 v[95:96], s[10:11], v[119:120]
	v_add_f64_e64 v[107:108], v[107:108], -v[177:178]
	v_add_f64_e32 v[64:65], v[123:124], v[64:65]
	v_mul_f64_e32 v[99:100], s[14:15], v[119:120]
	v_mul_f64_e32 v[91:92], s[22:23], v[129:130]
	v_add_f64_e32 v[54:55], v[54:55], v[58:59]
	v_add_f64_e32 v[52:53], v[52:53], v[56:57]
	;; [unrolled: 1-line block ×3, first 2 shown]
	v_add_f64_e64 v[76:77], v[76:77], -v[145:146]
	v_mul_f64_e32 v[56:57], s[22:23], v[105:106]
	v_add_f64_e32 v[72:73], v[89:90], v[72:73]
	v_mul_f64_e32 v[97:98], s[14:15], v[105:106]
	v_add_f64_e32 v[105:106], v[173:174], v[111:112]
	v_add_f64_e32 v[111:112], v[179:180], v[117:118]
	;; [unrolled: 1-line block ×3, first 2 shown]
	v_add_f64_e64 v[109:110], v[109:110], -v[171:172]
	v_mul_f64_e32 v[58:59], s[22:23], v[119:120]
	v_add_f64_e32 v[70:71], v[103:104], v[70:71]
	v_add_f64_e32 v[60:61], v[115:116], v[60:61]
	v_add_f64_e32 v[62:63], v[113:114], v[62:63]
	v_add_f64_e64 v[68:69], v[68:69], -v[101:102]
	v_mul_f64_e32 v[89:90], s[22:23], v[127:128]
	v_add_f64_e32 v[6:7], v[80:81], v[6:7]
	v_mul_f64_e32 v[80:81], s[6:7], v[129:130]
	v_add_f64_e32 v[85:86], v[183:184], v[85:86]
	v_add_f64_e64 v[82:83], v[82:83], -v[181:182]
	v_add_f64_e32 v[66:67], v[87:88], v[66:67]
	v_add_f64_e32 v[95:96], v[187:188], v[95:96]
	v_add_f64_e64 v[93:94], v[93:94], -v[185:186]
	v_mul_f64_e32 v[101:102], s[10:11], v[127:128]
	v_mul_f64_e32 v[103:104], s[10:11], v[129:130]
	v_add_f64_e32 v[99:100], v[191:192], v[99:100]
	v_add_f64_e32 v[50:51], v[54:55], v[50:51]
	;; [unrolled: 1-line block ×4, first 2 shown]
	v_mul_f64_e32 v[78:79], s[6:7], v[127:128]
	v_mul_f64_e32 v[52:53], s[14:15], v[127:128]
	v_add_f64_e32 v[72:73], v[76:77], v[72:73]
	v_add_f64_e64 v[97:98], v[97:98], -v[189:190]
	v_mul_f64_e32 v[54:55], s[14:15], v[129:130]
	v_add_f64_e32 v[64:65], v[111:112], v[64:65]
	v_add_f64_e32 v[74:75], v[107:108], v[74:75]
	v_add_f64_e64 v[56:57], v[56:57], -v[137:138]
	v_add_f64_e32 v[58:59], v[139:140], v[58:59]
	v_add_f64_e32 v[60:61], v[105:106], v[60:61]
	;; [unrolled: 1-line block ×5, first 2 shown]
	v_add_f64_e64 v[70:71], v[89:90], -v[193:194]
	v_add_f64_e32 v[66:67], v[85:86], v[66:67]
	v_add_f64_e32 v[18:19], v[50:51], v[18:19]
	;; [unrolled: 1-line block ×4, first 2 shown]
	v_add_f64_e64 v[78:79], v[78:79], -v[201:202]
	v_add_f64_e32 v[68:69], v[195:196], v[91:92]
	v_add_f64_e32 v[72:73], v[82:83], v[72:73]
	v_add_f64_e32 v[48:49], v[199:200], v[103:104]
	v_add_f64_e64 v[50:51], v[101:102], -v[197:198]
	v_add_f64_e32 v[64:65], v[95:96], v[64:65]
	v_add_f64_e32 v[74:75], v[93:94], v[74:75]
	v_add_f64_e32 v[54:55], v[143:144], v[54:55]
	;; [unrolled: 4-line block ×3, first 2 shown]
	v_add_f64_e32 v[80:81], v[18:19], v[10:11]
	v_add_f64_e32 v[82:83], v[16:17], v[8:9]
	;; [unrolled: 1-line block ×13, first 2 shown]
	v_and_b32_e32 v52, 0xffff, v210
	s_delay_alu instid0(VALU_DEP_1)
	v_add_lshl_u32 v52, v206, v52, 4
	ds_store_b128 v52, v[44:47] offset:96
	ds_store_b128 v52, v[40:43] offset:112
	;; [unrolled: 1-line block ×10, first 2 shown]
	ds_store_b128 v52, v[12:15]
	ds_store_b128 v52, v[48:51] offset:16
	ds_store_b128 v52, v[0:3] offset:192
.LBB0_7:
	s_wait_alu 0xfffe
	s_or_b32 exec_lo, exec_lo, s0
	v_lshlrev_b32_e32 v4, 6, v207
	s_load_b128 s[0:3], s[2:3], 0x0
	global_wb scope:SCOPE_SE
	s_wait_dscnt 0x0
	s_wait_kmcnt 0x0
	s_barrier_signal -1
	s_barrier_wait -1
	global_inv scope:SCOPE_SE
	s_clause 0x3
	global_load_b128 v[16:19], v4, s[4:5]
	global_load_b128 v[12:15], v4, s[4:5] offset:16
	global_load_b128 v[8:11], v4, s[4:5] offset:32
	;; [unrolled: 1-line block ×3, first 2 shown]
	v_add_lshl_u32 v73, v206, v207, 4
	ds_load_b128 v[48:51], v73 offset:208
	ds_load_b128 v[52:55], v73 offset:416
	;; [unrolled: 1-line block ×4, first 2 shown]
	s_mov_b32 s4, 0x134454ff
	s_mov_b32 s5, 0x3fee6f0e
	;; [unrolled: 1-line block ×3, first 2 shown]
	s_wait_alu 0xfffe
	s_mov_b32 s6, s4
	v_lshl_add_u32 v72, v207, 4, v209
	s_wait_loadcnt_dscnt 0x303
	v_mul_f64_e32 v[64:65], v[50:51], v[18:19]
	s_wait_loadcnt_dscnt 0x202
	v_mul_f64_e32 v[66:67], v[54:55], v[14:15]
	;; [unrolled: 2-line block ×3, first 2 shown]
	v_mul_f64_e32 v[70:71], v[48:49], v[18:19]
	s_wait_loadcnt_dscnt 0x0
	v_mul_f64_e32 v[74:75], v[62:63], v[6:7]
	v_mul_f64_e32 v[76:77], v[52:53], v[14:15]
	;; [unrolled: 1-line block ×4, first 2 shown]
	v_fma_f64 v[64:65], v[48:49], v[16:17], -v[64:65]
	v_fma_f64 v[52:53], v[52:53], v[12:13], -v[66:67]
	;; [unrolled: 1-line block ×3, first 2 shown]
	v_fma_f64 v[66:67], v[50:51], v[16:17], v[70:71]
	v_fma_f64 v[60:61], v[60:61], v[4:5], -v[74:75]
	v_fma_f64 v[54:55], v[54:55], v[12:13], v[76:77]
	v_fma_f64 v[58:59], v[58:59], v[8:9], v[78:79]
	;; [unrolled: 1-line block ×3, first 2 shown]
	ds_load_b128 v[48:51], v73
	s_wait_dscnt 0x0
	v_add_f64_e32 v[78:79], v[48:49], v[64:65]
	v_add_f64_e32 v[68:69], v[52:53], v[56:57]
	;; [unrolled: 1-line block ×4, first 2 shown]
	v_add_f64_e64 v[87:88], v[64:65], -v[60:61]
	v_add_f64_e32 v[74:75], v[54:55], v[58:59]
	v_add_f64_e32 v[76:77], v[66:67], v[62:63]
	v_add_f64_e64 v[80:81], v[66:67], -v[62:63]
	v_add_f64_e64 v[82:83], v[54:55], -v[58:59]
	;; [unrolled: 1-line block ×8, first 2 shown]
	v_fma_f64 v[68:69], v[68:69], -0.5, v[48:49]
	v_add_f64_e32 v[54:55], v[85:86], v[54:55]
	v_fma_f64 v[48:49], v[70:71], -0.5, v[48:49]
	v_add_f64_e64 v[70:71], v[52:53], -v[56:57]
	v_fma_f64 v[74:75], v[74:75], -0.5, v[50:51]
	v_fma_f64 v[50:51], v[76:77], -0.5, v[50:51]
	v_add_f64_e64 v[76:77], v[64:65], -v[52:53]
	v_add_f64_e64 v[64:65], v[52:53], -v[64:65]
	v_add_f64_e32 v[52:53], v[78:79], v[52:53]
	v_add_f64_e32 v[66:67], v[66:67], v[97:98]
	v_fma_f64 v[78:79], v[80:81], s[4:5], v[68:69]
	s_wait_alu 0xfffe
	v_fma_f64 v[68:69], v[80:81], s[6:7], v[68:69]
	v_fma_f64 v[85:86], v[82:83], s[6:7], v[48:49]
	;; [unrolled: 1-line block ×7, first 2 shown]
	s_mov_b32 s4, 0x4755a5e
	s_mov_b32 s5, 0x3fe2cf23
	;; [unrolled: 1-line block ×3, first 2 shown]
	s_wait_alu 0xfffe
	s_mov_b32 s6, s4
	v_add_f64_e32 v[76:77], v[76:77], v[89:90]
	v_add_f64_e32 v[89:90], v[64:65], v[91:92]
	;; [unrolled: 1-line block ×5, first 2 shown]
	v_fma_f64 v[56:57], v[82:83], s[4:5], v[78:79]
	s_wait_alu 0xfffe
	v_fma_f64 v[58:59], v[82:83], s[6:7], v[68:69]
	v_fma_f64 v[68:69], v[80:81], s[4:5], v[85:86]
	;; [unrolled: 1-line block ×7, first 2 shown]
	s_mov_b32 s4, 0x372fe950
	s_mov_b32 s5, 0x3fd3c6ef
	v_add_f64_e32 v[48:49], v[52:53], v[60:61]
	v_add_f64_e32 v[50:51], v[54:55], v[62:63]
	s_wait_alu 0xfffe
	v_fma_f64 v[52:53], v[76:77], s[4:5], v[56:57]
	v_fma_f64 v[64:65], v[76:77], s[4:5], v[58:59]
	;; [unrolled: 1-line block ×8, first 2 shown]
	ds_store_b128 v72, v[48:51]
	ds_store_b128 v72, v[52:55] offset:208
	ds_store_b128 v72, v[56:59] offset:416
	;; [unrolled: 1-line block ×4, first 2 shown]
	global_wb scope:SCOPE_SE
	s_wait_dscnt 0x0
	s_barrier_signal -1
	s_barrier_wait -1
	global_inv scope:SCOPE_SE
	s_and_saveexec_b32 s6, vcc_lo
	s_cbranch_execz .LBB0_9
; %bb.8:
	s_add_nc_u64 s[4:5], s[12:13], 0x410
	s_clause 0xc
	global_load_b128 v[68:71], v208, s[12:13] offset:1040
	global_load_b128 v[74:77], v208, s[4:5] offset:80
	;; [unrolled: 1-line block ×13, first 2 shown]
	ds_load_b128 v[125:128], v72
	ds_load_b128 v[129:132], v72 offset:80
	ds_load_b128 v[133:136], v72 offset:160
	;; [unrolled: 1-line block ×12, first 2 shown]
	s_wait_loadcnt_dscnt 0xc0c
	v_mul_f64_e32 v[82:83], v[127:128], v[70:71]
	v_mul_f64_e32 v[70:71], v[125:126], v[70:71]
	s_wait_loadcnt_dscnt 0xb0b
	v_mul_f64_e32 v[177:178], v[131:132], v[76:77]
	v_mul_f64_e32 v[76:77], v[129:130], v[76:77]
	;; [unrolled: 3-line block ×13, first 2 shown]
	v_fma_f64 v[80:81], v[125:126], v[68:69], -v[82:83]
	v_fma_f64 v[82:83], v[127:128], v[68:69], v[70:71]
	v_fma_f64 v[68:69], v[129:130], v[74:75], -v[177:178]
	v_fma_f64 v[70:71], v[131:132], v[74:75], v[76:77]
	v_fma_f64 v[74:75], v[133:134], v[78:79], -v[179:180]
	v_fma_f64 v[76:77], v[135:136], v[78:79], v[181:182]
	v_fma_f64 v[123:124], v[137:138], v[85:86], -v[183:184]
	v_fma_f64 v[125:126], v[139:140], v[85:86], v[87:88]
	v_fma_f64 v[85:86], v[141:142], v[89:90], -v[185:186]
	v_fma_f64 v[87:88], v[143:144], v[89:90], v[91:92]
	v_fma_f64 v[89:90], v[145:146], v[93:94], -v[187:188]
	v_fma_f64 v[91:92], v[147:148], v[93:94], v[95:96]
	v_fma_f64 v[93:94], v[149:150], v[97:98], -v[189:190]
	v_fma_f64 v[95:96], v[151:152], v[97:98], v[99:100]
	v_fma_f64 v[97:98], v[153:154], v[101:102], -v[191:192]
	v_fma_f64 v[99:100], v[155:156], v[101:102], v[103:104]
	v_fma_f64 v[101:102], v[157:158], v[105:106], -v[193:194]
	v_fma_f64 v[103:104], v[159:160], v[105:106], v[107:108]
	v_fma_f64 v[105:106], v[161:162], v[109:110], -v[195:196]
	v_fma_f64 v[107:108], v[163:164], v[109:110], v[111:112]
	v_fma_f64 v[109:110], v[165:166], v[113:114], -v[197:198]
	v_fma_f64 v[111:112], v[167:168], v[113:114], v[115:116]
	v_fma_f64 v[113:114], v[169:170], v[117:118], -v[199:200]
	v_fma_f64 v[115:116], v[171:172], v[117:118], v[119:120]
	v_fma_f64 v[117:118], v[173:174], v[121:122], -v[201:202]
	v_fma_f64 v[119:120], v[175:176], v[121:122], v[203:204]
	ds_store_b128 v72, v[80:83]
	ds_store_b128 v72, v[68:71] offset:80
	ds_store_b128 v72, v[74:77] offset:160
	;; [unrolled: 1-line block ×12, first 2 shown]
.LBB0_9:
	s_wait_alu 0xfffe
	s_or_b32 exec_lo, exec_lo, s6
	global_wb scope:SCOPE_SE
	s_wait_dscnt 0x0
	s_barrier_signal -1
	s_barrier_wait -1
	global_inv scope:SCOPE_SE
	s_and_saveexec_b32 s4, vcc_lo
	s_cbranch_execz .LBB0_11
; %bb.10:
	ds_load_b128 v[48:51], v72
	ds_load_b128 v[52:55], v72 offset:80
	ds_load_b128 v[56:59], v72 offset:160
	;; [unrolled: 1-line block ×12, first 2 shown]
.LBB0_11:
	s_wait_alu 0xfffe
	s_or_b32 exec_lo, exec_lo, s4
	global_wb scope:SCOPE_SE
	s_wait_dscnt 0x0
	s_barrier_signal -1
	s_barrier_wait -1
	global_inv scope:SCOPE_SE
	s_and_saveexec_b32 s33, vcc_lo
	s_cbranch_execz .LBB0_13
; %bb.12:
	v_add_f64_e32 v[68:69], v[54:55], v[50:51]
	v_add_f64_e32 v[70:71], v[52:53], v[48:49]
	v_add_f64_e64 v[82:83], v[64:65], -v[28:29]
	v_add_f64_e64 v[85:86], v[66:67], -v[30:31]
	v_add_f64_e64 v[87:88], v[60:61], -v[24:25]
	v_add_f64_e32 v[89:90], v[62:63], v[26:27]
	v_add_f64_e64 v[91:92], v[62:63], -v[26:27]
	v_add_f64_e32 v[93:94], v[60:61], v[24:25]
	v_add_f64_e64 v[95:96], v[56:57], -v[20:21]
	v_add_f64_e64 v[97:98], v[58:59], -v[22:23]
	v_add_f64_e32 v[99:100], v[58:59], v[22:23]
	v_add_f64_e32 v[101:102], v[56:57], v[20:21]
	s_mov_b32 s37, 0x3fddbe06
	s_mov_b32 s36, 0x4267c47c
	;; [unrolled: 1-line block ×14, first 2 shown]
	s_wait_alu 0xfffe
	s_mov_b32 s26, s34
	s_mov_b32 s24, s30
	;; [unrolled: 1-line block ×12, first 2 shown]
	v_add_f64_e32 v[68:69], v[58:59], v[68:69]
	v_add_f64_e32 v[70:71], v[56:57], v[70:71]
	s_delay_alu instid0(VALU_DEP_2) | instskip(NEXT) | instid1(VALU_DEP_2)
	v_add_f64_e32 v[68:69], v[62:63], v[68:69]
	v_add_f64_e32 v[70:71], v[60:61], v[70:71]
	s_delay_alu instid0(VALU_DEP_2) | instskip(NEXT) | instid1(VALU_DEP_2)
	;; [unrolled: 3-line block ×4, first 2 shown]
	v_add_f64_e32 v[74:75], v[68:69], v[46:47]
	v_add_f64_e32 v[76:77], v[44:45], v[70:71]
	v_add_f64_e64 v[70:71], v[44:45], -v[40:41]
	v_add_f64_e32 v[68:69], v[46:47], v[42:43]
	v_add_f64_e64 v[46:47], v[46:47], -v[42:43]
	v_add_f64_e32 v[44:45], v[44:45], v[40:41]
	v_add_f64_e32 v[74:75], v[74:75], v[42:43]
	;; [unrolled: 1-line block ×3, first 2 shown]
	v_add_f64_e64 v[42:43], v[36:37], -v[32:33]
	v_add_f64_e32 v[40:41], v[38:39], v[34:35]
	v_add_f64_e64 v[38:39], v[38:39], -v[34:35]
	v_add_f64_e32 v[36:37], v[36:37], v[32:33]
	v_mul_f64_e32 v[78:79], s[36:37], v[70:71]
	v_mul_f64_e32 v[80:81], s[36:37], v[46:47]
	;; [unrolled: 1-line block ×6, first 2 shown]
	v_add_f64_e32 v[74:75], v[74:75], v[34:35]
	v_add_f64_e32 v[76:77], v[76:77], v[32:33]
	v_add_f64_e32 v[32:33], v[66:67], v[30:31]
	v_add_f64_e32 v[34:35], v[64:65], v[28:29]
	v_mul_f64_e32 v[56:57], s[36:37], v[42:43]
	v_mul_f64_e32 v[58:59], s[36:37], v[38:39]
	;; [unrolled: 1-line block ×4, first 2 shown]
	v_add_f64_e32 v[30:31], v[74:75], v[30:31]
	v_add_f64_e32 v[28:29], v[76:77], v[28:29]
	v_mul_f64_e32 v[74:75], s[36:37], v[82:83]
	v_mul_f64_e32 v[76:77], s[36:37], v[85:86]
	s_delay_alu instid0(VALU_DEP_4) | instskip(NEXT) | instid1(VALU_DEP_4)
	v_add_f64_e32 v[26:27], v[30:31], v[26:27]
	v_add_f64_e32 v[24:25], v[28:29], v[24:25]
	;; [unrolled: 1-line block ×4, first 2 shown]
	s_delay_alu instid0(VALU_DEP_4) | instskip(NEXT) | instid1(VALU_DEP_4)
	v_add_f64_e32 v[22:23], v[26:27], v[22:23]
	v_add_f64_e32 v[20:21], v[24:25], v[20:21]
	v_add_f64_e64 v[24:25], v[52:53], -v[0:1]
	v_add_f64_e64 v[26:27], v[54:55], -v[2:3]
	v_mul_f64_e32 v[52:53], s[36:37], v[95:96]
	v_mul_f64_e32 v[54:55], s[36:37], v[97:98]
	s_mov_b32 s37, 0xbfddbe06
	v_add_f64_e32 v[2:3], v[22:23], v[2:3]
	v_add_f64_e32 v[0:1], v[20:21], v[0:1]
	v_mul_f64_e32 v[20:21], s[4:5], v[24:25]
	v_mul_f64_e32 v[22:23], s[6:7], v[24:25]
	;; [unrolled: 1-line block ×3, first 2 shown]
	s_wait_alu 0xfffe
	v_mul_f64_e32 v[62:63], s[24:25], v[24:25]
	v_mul_f64_e32 v[103:104], s[26:27], v[24:25]
	;; [unrolled: 1-line block ×7, first 2 shown]
	v_fma_f64 v[105:106], v[28:29], s[14:15], v[20:21]
	v_fma_f64 v[20:21], v[28:29], s[14:15], -v[20:21]
	v_fma_f64 v[107:108], v[28:29], s[16:17], v[22:23]
	v_fma_f64 v[22:23], v[28:29], s[16:17], -v[22:23]
	;; [unrolled: 2-line block ×6, first 2 shown]
	v_mul_f64_e32 v[28:29], s[4:5], v[26:27]
	v_mul_f64_e32 v[26:27], s[36:37], v[26:27]
	v_fma_f64 v[131:132], v[30:31], s[20:21], -v[121:122]
	v_fma_f64 v[121:122], v[30:31], s[20:21], v[121:122]
	v_fma_f64 v[133:134], v[30:31], s[22:23], -v[123:124]
	v_fma_f64 v[127:128], v[30:31], s[16:17], -v[117:118]
	v_fma_f64 v[117:118], v[30:31], s[16:17], v[117:118]
	v_fma_f64 v[129:130], v[30:31], s[18:19], -v[119:120]
	v_fma_f64 v[119:120], v[30:31], s[18:19], v[119:120]
	v_fma_f64 v[123:124], v[30:31], s[22:23], v[123:124]
	s_mov_b32 s37, 0x3fcea1e5
	s_mov_b32 s36, s4
	v_add_f64_e32 v[107:108], v[50:51], v[107:108]
	v_add_f64_e32 v[137:138], v[50:51], v[22:23]
	v_fma_f64 v[22:23], v[101:102], s[28:29], -v[54:55]
	v_add_f64_e32 v[139:140], v[50:51], v[60:61]
	v_fma_f64 v[54:55], v[101:102], s[28:29], v[54:55]
	v_add_f64_e32 v[60:61], v[50:51], v[62:63]
	v_add_f64_e32 v[109:110], v[50:51], v[109:110]
	;; [unrolled: 1-line block ×5, first 2 shown]
	v_fma_f64 v[125:126], v[30:31], s[14:15], -v[28:29]
	v_fma_f64 v[135:136], v[30:31], s[28:29], -v[26:27]
	v_fma_f64 v[28:29], v[30:31], s[14:15], v[28:29]
	v_fma_f64 v[26:27], v[30:31], s[28:29], v[26:27]
	v_add_f64_e32 v[30:31], v[50:51], v[105:106]
	v_add_f64_e32 v[62:63], v[48:49], v[121:122]
	;; [unrolled: 1-line block ×14, first 2 shown]
	v_fma_f64 v[20:21], v[99:100], s[28:29], v[52:53]
	v_mul_f64_e32 v[24:25], s[6:7], v[87:88]
	v_add_f64_e32 v[141:142], v[48:49], v[26:27]
	v_add_f64_e32 v[28:29], v[48:49], v[28:29]
	v_fma_f64 v[52:53], v[99:100], s[28:29], -v[52:53]
	v_add_f64_e32 v[22:23], v[22:23], v[105:106]
	v_add_f64_e32 v[20:21], v[20:21], v[30:31]
	v_fma_f64 v[26:27], v[89:90], s[16:17], v[24:25]
	v_fma_f64 v[24:25], v[89:90], s[16:17], -v[24:25]
	v_add_f64_e32 v[28:29], v[54:55], v[28:29]
	v_add_f64_e32 v[52:53], v[52:53], v[125:126]
	s_delay_alu instid0(VALU_DEP_4) | instskip(SKIP_1) | instid1(VALU_DEP_3)
	v_add_f64_e32 v[20:21], v[26:27], v[20:21]
	v_mul_f64_e32 v[26:27], s[6:7], v[91:92]
	v_add_f64_e32 v[24:25], v[24:25], v[52:53]
	v_mul_f64_e32 v[52:53], s[26:27], v[87:88]
	s_delay_alu instid0(VALU_DEP_3) | instskip(SKIP_1) | instid1(VALU_DEP_3)
	v_fma_f64 v[30:31], v[93:94], s[16:17], -v[26:27]
	v_fma_f64 v[26:27], v[93:94], s[16:17], v[26:27]
	v_fma_f64 v[54:55], v[89:90], s[22:23], v[52:53]
	v_fma_f64 v[52:53], v[89:90], s[22:23], -v[52:53]
	s_delay_alu instid0(VALU_DEP_4) | instskip(SKIP_2) | instid1(VALU_DEP_2)
	v_add_f64_e32 v[22:23], v[30:31], v[22:23]
	v_mul_f64_e32 v[30:31], s[34:35], v[82:83]
	v_add_f64_e32 v[26:27], v[26:27], v[28:29]
	v_fma_f64 v[48:49], v[32:33], s[22:23], v[30:31]
	v_fma_f64 v[28:29], v[32:33], s[22:23], -v[30:31]
	v_fma_f64 v[30:31], v[44:45], s[20:21], v[147:148]
	s_delay_alu instid0(VALU_DEP_3) | instskip(SKIP_1) | instid1(VALU_DEP_4)
	v_add_f64_e32 v[20:21], v[48:49], v[20:21]
	v_mul_f64_e32 v[48:49], s[34:35], v[85:86]
	v_add_f64_e32 v[24:25], v[28:29], v[24:25]
	s_delay_alu instid0(VALU_DEP_2) | instskip(SKIP_2) | instid1(VALU_DEP_3)
	v_fma_f64 v[50:51], v[34:35], s[22:23], -v[48:49]
	v_fma_f64 v[28:29], v[34:35], s[22:23], v[48:49]
	v_mul_f64_e32 v[48:49], s[30:31], v[95:96]
	v_add_f64_e32 v[22:23], v[50:51], v[22:23]
	v_mul_f64_e32 v[50:51], s[10:11], v[42:43]
	s_delay_alu instid0(VALU_DEP_4) | instskip(NEXT) | instid1(VALU_DEP_2)
	v_add_f64_e32 v[26:27], v[28:29], v[26:27]
	v_fma_f64 v[105:106], v[40:41], s[18:19], v[50:51]
	v_fma_f64 v[28:29], v[40:41], s[18:19], -v[50:51]
	v_mul_f64_e32 v[50:51], s[30:31], v[97:98]
	s_delay_alu instid0(VALU_DEP_3) | instskip(SKIP_1) | instid1(VALU_DEP_4)
	v_add_f64_e32 v[20:21], v[105:106], v[20:21]
	v_mul_f64_e32 v[105:106], s[10:11], v[38:39]
	v_add_f64_e32 v[24:25], v[28:29], v[24:25]
	s_delay_alu instid0(VALU_DEP_2) | instskip(SKIP_1) | instid1(VALU_DEP_2)
	v_fma_f64 v[28:29], v[36:37], s[18:19], v[105:106]
	v_fma_f64 v[143:144], v[36:37], s[18:19], -v[105:106]
	v_add_f64_e32 v[28:29], v[28:29], v[26:27]
	v_fma_f64 v[26:27], v[68:69], s[20:21], -v[145:146]
	s_delay_alu instid0(VALU_DEP_3) | instskip(SKIP_1) | instid1(VALU_DEP_3)
	v_add_f64_e32 v[143:144], v[143:144], v[22:23]
	v_fma_f64 v[22:23], v[68:69], s[20:21], v[145:146]
	v_add_f64_e32 v[26:27], v[26:27], v[24:25]
	v_add_f64_e32 v[24:25], v[30:31], v[28:29]
	v_fma_f64 v[28:29], v[99:100], s[20:21], v[48:49]
	v_fma_f64 v[30:31], v[101:102], s[20:21], -v[50:51]
	v_fma_f64 v[48:49], v[99:100], s[20:21], -v[48:49]
	v_fma_f64 v[50:51], v[101:102], s[20:21], v[50:51]
	v_add_f64_e32 v[22:23], v[22:23], v[20:21]
	v_fma_f64 v[20:21], v[44:45], s[20:21], -v[147:148]
	v_add_f64_e32 v[28:29], v[28:29], v[107:108]
	v_add_f64_e32 v[30:31], v[30:31], v[127:128]
	;; [unrolled: 1-line block ×4, first 2 shown]
	v_mul_f64_e32 v[127:128], s[10:11], v[70:71]
	v_add_f64_e32 v[20:21], v[20:21], v[143:144]
	v_mul_f64_e32 v[143:144], s[10:11], v[46:47]
	v_mul_f64_e32 v[117:118], s[24:25], v[85:86]
	;; [unrolled: 1-line block ×4, first 2 shown]
	v_add_f64_e32 v[28:29], v[54:55], v[28:29]
	v_mul_f64_e32 v[54:55], s[26:27], v[91:92]
	v_add_f64_e32 v[48:49], v[52:53], v[48:49]
	s_delay_alu instid0(VALU_DEP_2) | instskip(SKIP_2) | instid1(VALU_DEP_3)
	v_fma_f64 v[105:106], v[93:94], s[22:23], -v[54:55]
	v_fma_f64 v[52:53], v[93:94], s[22:23], v[54:55]
	v_fma_f64 v[54:55], v[44:45], s[18:19], v[143:144]
	v_add_f64_e32 v[30:31], v[105:106], v[30:31]
	s_wait_alu 0xfffe
	v_mul_f64_e32 v[105:106], s[36:37], v[82:83]
	s_delay_alu instid0(VALU_DEP_4) | instskip(NEXT) | instid1(VALU_DEP_2)
	v_add_f64_e32 v[50:51], v[52:53], v[50:51]
	v_fma_f64 v[107:108], v[32:33], s[14:15], v[105:106]
	v_fma_f64 v[52:53], v[32:33], s[14:15], -v[105:106]
	v_mul_f64_e32 v[105:106], s[38:39], v[95:96]
	s_delay_alu instid0(VALU_DEP_3) | instskip(SKIP_1) | instid1(VALU_DEP_4)
	v_add_f64_e32 v[28:29], v[107:108], v[28:29]
	v_mul_f64_e32 v[107:108], s[36:37], v[85:86]
	v_add_f64_e32 v[48:49], v[52:53], v[48:49]
	s_delay_alu instid0(VALU_DEP_2) | instskip(SKIP_2) | instid1(VALU_DEP_3)
	v_fma_f64 v[52:53], v[34:35], s[14:15], v[107:108]
	v_fma_f64 v[125:126], v[34:35], s[14:15], -v[107:108]
	v_mul_f64_e32 v[107:108], s[38:39], v[97:98]
	v_add_f64_e32 v[50:51], v[52:53], v[50:51]
	v_fma_f64 v[52:53], v[40:41], s[28:29], -v[56:57]
	s_delay_alu instid0(VALU_DEP_4)
	v_add_f64_e32 v[30:31], v[125:126], v[30:31]
	v_fma_f64 v[125:126], v[40:41], s[28:29], v[56:57]
	v_fma_f64 v[56:57], v[89:90], s[28:29], v[64:65]
	v_fma_f64 v[64:65], v[89:90], s[28:29], -v[64:65]
	v_add_f64_e32 v[48:49], v[52:53], v[48:49]
	v_fma_f64 v[52:53], v[36:37], s[28:29], v[58:59]
	v_add_f64_e32 v[28:29], v[125:126], v[28:29]
	v_fma_f64 v[125:126], v[36:37], s[28:29], -v[58:59]
	s_delay_alu instid0(VALU_DEP_3) | instskip(SKIP_1) | instid1(VALU_DEP_3)
	v_add_f64_e32 v[52:53], v[52:53], v[50:51]
	v_fma_f64 v[50:51], v[68:69], s[18:19], -v[127:128]
	v_add_f64_e32 v[125:126], v[125:126], v[30:31]
	v_fma_f64 v[30:31], v[68:69], s[18:19], v[127:128]
	v_mul_f64_e32 v[127:128], s[36:37], v[38:39]
	s_delay_alu instid0(VALU_DEP_4)
	v_add_f64_e32 v[50:51], v[50:51], v[48:49]
	v_add_f64_e32 v[48:49], v[54:55], v[52:53]
	v_fma_f64 v[52:53], v[99:100], s[16:17], v[105:106]
	v_fma_f64 v[54:55], v[101:102], s[16:17], -v[107:108]
	v_add_f64_e32 v[30:31], v[30:31], v[28:29]
	v_fma_f64 v[28:29], v[44:45], s[18:19], -v[143:144]
	v_mul_f64_e32 v[143:144], s[10:11], v[95:96]
	v_fma_f64 v[105:106], v[99:100], s[16:17], -v[105:106]
	v_fma_f64 v[107:108], v[101:102], s[16:17], v[107:108]
	v_add_f64_e32 v[52:53], v[52:53], v[109:110]
	v_add_f64_e32 v[54:55], v[54:55], v[129:130]
	v_mul_f64_e32 v[109:110], s[24:25], v[82:83]
	v_add_f64_e32 v[28:29], v[28:29], v[125:126]
	v_mul_f64_e32 v[125:126], s[36:37], v[42:43]
	v_mul_f64_e32 v[129:130], s[34:35], v[70:71]
	v_add_f64_e32 v[105:106], v[105:106], v[139:140]
	v_add_f64_e32 v[107:108], v[107:108], v[119:120]
	v_mul_f64_e32 v[70:71], s[4:5], v[70:71]
	v_add_f64_e32 v[52:53], v[56:57], v[52:53]
	v_fma_f64 v[56:57], v[93:94], s[28:29], -v[66:67]
	v_fma_f64 v[66:67], v[93:94], s[28:29], v[66:67]
	v_add_f64_e32 v[64:65], v[64:65], v[105:106]
	v_fma_f64 v[105:106], v[32:33], s[20:21], -v[109:110]
	s_delay_alu instid0(VALU_DEP_4)
	v_add_f64_e32 v[54:55], v[56:57], v[54:55]
	v_fma_f64 v[56:57], v[32:33], s[20:21], v[109:110]
	v_add_f64_e32 v[66:67], v[66:67], v[107:108]
	v_fma_f64 v[107:108], v[44:45], s[22:23], v[137:138]
	;; [unrolled: 2-line block ×3, first 2 shown]
	v_add_f64_e32 v[52:53], v[56:57], v[52:53]
	v_fma_f64 v[56:57], v[34:35], s[20:21], -v[117:118]
	s_delay_alu instid0(VALU_DEP_3) | instskip(SKIP_1) | instid1(VALU_DEP_3)
	v_add_f64_e32 v[66:67], v[105:106], v[66:67]
	v_fma_f64 v[105:106], v[40:41], s[14:15], -v[125:126]
	v_add_f64_e32 v[54:55], v[56:57], v[54:55]
	v_fma_f64 v[56:57], v[40:41], s[14:15], v[125:126]
	s_delay_alu instid0(VALU_DEP_3) | instskip(SKIP_1) | instid1(VALU_DEP_3)
	v_add_f64_e32 v[64:65], v[105:106], v[64:65]
	v_fma_f64 v[105:106], v[36:37], s[14:15], v[127:128]
	v_add_f64_e32 v[52:53], v[56:57], v[52:53]
	v_fma_f64 v[56:57], v[36:37], s[14:15], -v[127:128]
	s_delay_alu instid0(VALU_DEP_3) | instskip(SKIP_1) | instid1(VALU_DEP_3)
	v_add_f64_e32 v[105:106], v[105:106], v[66:67]
	v_fma_f64 v[66:67], v[68:69], s[22:23], -v[129:130]
	v_add_f64_e32 v[56:57], v[56:57], v[54:55]
	v_fma_f64 v[54:55], v[68:69], s[22:23], v[129:130]
	s_delay_alu instid0(VALU_DEP_3) | instskip(SKIP_1) | instid1(VALU_DEP_3)
	v_add_f64_e32 v[66:67], v[66:67], v[64:65]
	v_add_f64_e32 v[64:65], v[107:108], v[105:106]
	;; [unrolled: 1-line block ×3, first 2 shown]
	v_fma_f64 v[52:53], v[44:45], s[22:23], -v[137:138]
	s_delay_alu instid0(VALU_DEP_1) | instskip(SKIP_1) | instid1(VALU_DEP_1)
	v_add_f64_e32 v[52:53], v[52:53], v[56:57]
	v_fma_f64 v[56:57], v[99:100], s[18:19], -v[143:144]
	v_add_f64_e32 v[56:57], v[56:57], v[103:104]
	v_mul_f64_e32 v[103:104], s[10:11], v[97:98]
	s_delay_alu instid0(VALU_DEP_1) | instskip(SKIP_1) | instid1(VALU_DEP_2)
	v_fma_f64 v[58:59], v[101:102], s[18:19], v[103:104]
	v_fma_f64 v[103:104], v[101:102], s[18:19], -v[103:104]
	v_add_f64_e32 v[58:59], v[58:59], v[123:124]
	v_mul_f64_e32 v[123:124], s[4:5], v[87:88]
	s_delay_alu instid0(VALU_DEP_3) | instskip(NEXT) | instid1(VALU_DEP_2)
	v_add_f64_e32 v[103:104], v[103:104], v[121:122]
	v_fma_f64 v[145:146], v[89:90], s[14:15], -v[123:124]
	s_delay_alu instid0(VALU_DEP_1) | instskip(SKIP_1) | instid1(VALU_DEP_1)
	v_add_f64_e32 v[56:57], v[145:146], v[56:57]
	v_mul_f64_e32 v[145:146], s[4:5], v[91:92]
	v_fma_f64 v[147:148], v[93:94], s[14:15], v[145:146]
	s_delay_alu instid0(VALU_DEP_1) | instskip(SKIP_2) | instid1(VALU_DEP_2)
	v_add_f64_e32 v[58:59], v[147:148], v[58:59]
	v_mul_f64_e32 v[147:148], s[38:39], v[82:83]
	v_mul_f64_e32 v[82:83], s[10:11], v[82:83]
	v_fma_f64 v[149:150], v[32:33], s[16:17], -v[147:148]
	s_delay_alu instid0(VALU_DEP_1) | instskip(SKIP_1) | instid1(VALU_DEP_1)
	v_add_f64_e32 v[56:57], v[149:150], v[56:57]
	v_mul_f64_e32 v[149:150], s[38:39], v[85:86]
	v_fma_f64 v[151:152], v[34:35], s[16:17], v[149:150]
	s_delay_alu instid0(VALU_DEP_1) | instskip(SKIP_1) | instid1(VALU_DEP_1)
	v_add_f64_e32 v[58:59], v[151:152], v[58:59]
	v_mul_f64_e32 v[151:152], s[30:31], v[42:43]
	v_fma_f64 v[153:154], v[40:41], s[20:21], -v[151:152]
	s_delay_alu instid0(VALU_DEP_1) | instskip(SKIP_3) | instid1(VALU_DEP_1)
	v_add_f64_e32 v[56:57], v[153:154], v[56:57]
	v_mul_f64_e32 v[153:154], s[30:31], v[38:39]
	s_mov_b32 s31, 0x3fedeba7
	s_mov_b32 s30, s10
	v_fma_f64 v[155:156], v[36:37], s[20:21], v[153:154]
	s_delay_alu instid0(VALU_DEP_1) | instskip(SKIP_2) | instid1(VALU_DEP_2)
	v_add_f64_e32 v[155:156], v[155:156], v[58:59]
	v_fma_f64 v[58:59], v[68:69], s[28:29], -v[78:79]
	v_fma_f64 v[78:79], v[68:69], s[28:29], v[78:79]
	v_add_f64_e32 v[58:59], v[58:59], v[56:57]
	v_fma_f64 v[56:57], v[44:45], s[28:29], v[80:81]
	s_delay_alu instid0(VALU_DEP_1) | instskip(SKIP_2) | instid1(VALU_DEP_2)
	v_add_f64_e32 v[56:57], v[56:57], v[155:156]
	v_mul_f64_e32 v[155:156], s[4:5], v[95:96]
	v_mul_f64_e32 v[95:96], s[26:27], v[95:96]
	v_fma_f64 v[157:158], v[99:100], s[14:15], -v[155:156]
	v_fma_f64 v[105:106], v[99:100], s[14:15], v[155:156]
	s_delay_alu instid0(VALU_DEP_2) | instskip(SKIP_1) | instid1(VALU_DEP_3)
	v_add_f64_e32 v[60:61], v[157:158], v[60:61]
	v_mul_f64_e32 v[157:158], s[4:5], v[97:98]
	v_add_f64_e32 v[105:106], v[105:106], v[111:112]
	v_mul_f64_e32 v[97:98], s[26:27], v[97:98]
	s_delay_alu instid0(VALU_DEP_3) | instskip(SKIP_1) | instid1(VALU_DEP_2)
	v_fma_f64 v[159:160], v[101:102], s[14:15], v[157:158]
	v_fma_f64 v[107:108], v[101:102], s[14:15], -v[157:158]
	v_add_f64_e32 v[62:63], v[159:160], v[62:63]
	s_wait_alu 0xfffe
	v_mul_f64_e32 v[159:160], s[30:31], v[87:88]
	s_delay_alu instid0(VALU_DEP_3) | instskip(NEXT) | instid1(VALU_DEP_2)
	v_add_f64_e32 v[107:108], v[107:108], v[131:132]
	v_fma_f64 v[161:162], v[89:90], s[18:19], -v[159:160]
	v_fma_f64 v[109:110], v[89:90], s[18:19], v[159:160]
	s_delay_alu instid0(VALU_DEP_2) | instskip(SKIP_1) | instid1(VALU_DEP_3)
	v_add_f64_e32 v[60:61], v[161:162], v[60:61]
	v_mul_f64_e32 v[161:162], s[30:31], v[91:92]
	v_add_f64_e32 v[105:106], v[109:110], v[105:106]
	v_mul_f64_e32 v[91:92], s[24:25], v[91:92]
	s_delay_alu instid0(VALU_DEP_3) | instskip(SKIP_1) | instid1(VALU_DEP_2)
	v_fma_f64 v[163:164], v[93:94], s[18:19], v[161:162]
	v_fma_f64 v[109:110], v[93:94], s[18:19], -v[161:162]
	v_add_f64_e32 v[62:63], v[163:164], v[62:63]
	v_fma_f64 v[163:164], v[32:33], s[28:29], -v[74:75]
	v_fma_f64 v[74:75], v[32:33], s[28:29], v[74:75]
	s_delay_alu instid0(VALU_DEP_4) | instskip(NEXT) | instid1(VALU_DEP_3)
	v_add_f64_e32 v[107:108], v[109:110], v[107:108]
	v_add_f64_e32 v[60:61], v[163:164], v[60:61]
	v_fma_f64 v[163:164], v[34:35], s[28:29], v[76:77]
	s_delay_alu instid0(VALU_DEP_4) | instskip(SKIP_1) | instid1(VALU_DEP_3)
	v_add_f64_e32 v[74:75], v[74:75], v[105:106]
	v_fma_f64 v[76:77], v[34:35], s[28:29], -v[76:77]
	v_add_f64_e32 v[62:63], v[163:164], v[62:63]
	v_mul_f64_e32 v[163:164], s[26:27], v[42:43]
	s_delay_alu instid0(VALU_DEP_3) | instskip(SKIP_2) | instid1(VALU_DEP_4)
	v_add_f64_e32 v[76:77], v[76:77], v[107:108]
	v_fma_f64 v[107:108], v[44:45], s[16:17], -v[171:172]
	v_mul_f64_e32 v[42:43], s[6:7], v[42:43]
	v_fma_f64 v[165:166], v[40:41], s[22:23], -v[163:164]
	v_fma_f64 v[105:106], v[40:41], s[22:23], v[163:164]
	s_delay_alu instid0(VALU_DEP_2) | instskip(SKIP_1) | instid1(VALU_DEP_3)
	v_add_f64_e32 v[60:61], v[165:166], v[60:61]
	v_mul_f64_e32 v[165:166], s[26:27], v[38:39]
	v_add_f64_e32 v[74:75], v[105:106], v[74:75]
	v_mul_f64_e32 v[38:39], s[6:7], v[38:39]
	s_delay_alu instid0(VALU_DEP_3) | instskip(SKIP_1) | instid1(VALU_DEP_2)
	v_fma_f64 v[105:106], v[36:37], s[22:23], -v[165:166]
	v_fma_f64 v[167:168], v[36:37], s[22:23], v[165:166]
	v_add_f64_e32 v[105:106], v[105:106], v[76:77]
	v_fma_f64 v[76:77], v[68:69], s[16:17], v[169:170]
	s_delay_alu instid0(VALU_DEP_3) | instskip(SKIP_1) | instid1(VALU_DEP_3)
	v_add_f64_e32 v[167:168], v[167:168], v[62:63]
	v_fma_f64 v[62:63], v[68:69], s[16:17], -v[169:170]
	v_add_f64_e32 v[76:77], v[76:77], v[74:75]
	v_add_f64_e32 v[74:75], v[107:108], v[105:106]
	v_fma_f64 v[105:106], v[99:100], s[18:19], v[143:144]
	v_fma_f64 v[107:108], v[89:90], s[14:15], v[123:124]
	v_add_f64_e32 v[62:63], v[62:63], v[60:61]
	v_fma_f64 v[60:61], v[44:45], s[16:17], v[171:172]
	s_delay_alu instid0(VALU_DEP_4) | instskip(NEXT) | instid1(VALU_DEP_2)
	v_add_f64_e32 v[105:106], v[105:106], v[113:114]
	v_add_f64_e32 v[60:61], v[60:61], v[167:168]
	s_delay_alu instid0(VALU_DEP_2) | instskip(SKIP_1) | instid1(VALU_DEP_1)
	v_add_f64_e32 v[105:106], v[107:108], v[105:106]
	v_fma_f64 v[107:108], v[93:94], s[14:15], -v[145:146]
	v_add_f64_e32 v[103:104], v[107:108], v[103:104]
	v_fma_f64 v[107:108], v[32:33], s[16:17], v[147:148]
	s_delay_alu instid0(VALU_DEP_1) | instskip(SKIP_1) | instid1(VALU_DEP_1)
	v_add_f64_e32 v[105:106], v[107:108], v[105:106]
	v_fma_f64 v[107:108], v[34:35], s[16:17], -v[149:150]
	v_add_f64_e32 v[103:104], v[107:108], v[103:104]
	v_fma_f64 v[107:108], v[40:41], s[20:21], v[151:152]
	s_delay_alu instid0(VALU_DEP_1) | instskip(SKIP_1) | instid1(VALU_DEP_1)
	v_add_f64_e32 v[105:106], v[107:108], v[105:106]
	v_fma_f64 v[107:108], v[36:37], s[20:21], -v[153:154]
	v_add_f64_e32 v[103:104], v[107:108], v[103:104]
	v_fma_f64 v[107:108], v[44:45], s[28:29], -v[80:81]
	s_delay_alu instid0(VALU_DEP_4) | instskip(SKIP_2) | instid1(VALU_DEP_4)
	v_add_f64_e32 v[80:81], v[78:79], v[105:106]
	v_fma_f64 v[105:106], v[101:102], s[22:23], v[97:98]
	v_fma_f64 v[97:98], v[101:102], s[22:23], -v[97:98]
	v_add_f64_e32 v[78:79], v[107:108], v[103:104]
	v_fma_f64 v[103:104], v[99:100], s[22:23], -v[95:96]
	v_mul_f64_e32 v[107:108], s[24:25], v[87:88]
	v_add_f64_e32 v[105:106], v[105:106], v[141:142]
	v_fma_f64 v[95:96], v[99:100], s[22:23], v[95:96]
	s_delay_alu instid0(VALU_DEP_4) | instskip(NEXT) | instid1(VALU_DEP_4)
	v_add_f64_e32 v[103:104], v[103:104], v[135:136]
	v_fma_f64 v[87:88], v[89:90], s[20:21], -v[107:108]
	v_fma_f64 v[89:90], v[89:90], s[20:21], v[107:108]
	s_delay_alu instid0(VALU_DEP_4) | instskip(NEXT) | instid1(VALU_DEP_3)
	v_add_f64_e32 v[95:96], v[95:96], v[115:116]
	v_add_f64_e32 v[87:88], v[87:88], v[103:104]
	v_fma_f64 v[103:104], v[93:94], s[20:21], v[91:92]
	v_fma_f64 v[91:92], v[93:94], s[20:21], -v[91:92]
	v_add_f64_e32 v[93:94], v[97:98], v[133:134]
	s_delay_alu instid0(VALU_DEP_3) | instskip(SKIP_4) | instid1(VALU_DEP_4)
	v_add_f64_e32 v[103:104], v[103:104], v[105:106]
	v_fma_f64 v[105:106], v[32:33], s[18:19], -v[82:83]
	v_fma_f64 v[32:33], v[32:33], s[18:19], v[82:83]
	v_add_f64_e32 v[82:83], v[89:90], v[95:96]
	v_add_f64_e32 v[89:90], v[91:92], v[93:94]
	;; [unrolled: 1-line block ×3, first 2 shown]
	v_mul_f64_e32 v[105:106], s[10:11], v[85:86]
	s_delay_alu instid0(VALU_DEP_4) | instskip(NEXT) | instid1(VALU_DEP_2)
	v_add_f64_e32 v[32:33], v[32:33], v[82:83]
	v_fma_f64 v[85:86], v[34:35], s[18:19], v[105:106]
	v_fma_f64 v[34:35], v[34:35], s[18:19], -v[105:106]
	s_delay_alu instid0(VALU_DEP_2) | instskip(SKIP_2) | instid1(VALU_DEP_4)
	v_add_f64_e32 v[85:86], v[85:86], v[103:104]
	v_fma_f64 v[103:104], v[40:41], s[16:17], -v[42:43]
	v_fma_f64 v[40:41], v[40:41], s[16:17], v[42:43]
	v_add_f64_e32 v[34:35], v[34:35], v[89:90]
	s_delay_alu instid0(VALU_DEP_3)
	v_add_f64_e32 v[87:88], v[103:104], v[87:88]
	v_fma_f64 v[103:104], v[36:37], s[16:17], v[38:39]
	v_fma_f64 v[36:37], v[36:37], s[16:17], -v[38:39]
	v_fma_f64 v[38:39], v[68:69], s[14:15], v[70:71]
	v_add_f64_e32 v[32:33], v[40:41], v[32:33]
	v_fma_f64 v[40:41], v[44:45], s[14:15], -v[46:47]
	v_add_f64_e32 v[85:86], v[103:104], v[85:86]
	v_fma_f64 v[103:104], v[68:69], s[14:15], -v[70:71]
	v_add_f64_e32 v[36:37], v[36:37], v[34:35]
	v_add_f64_e32 v[34:35], v[38:39], v[32:33]
	s_delay_alu instid0(VALU_DEP_3) | instskip(SKIP_1) | instid1(VALU_DEP_4)
	v_add_f64_e32 v[87:88], v[103:104], v[87:88]
	v_fma_f64 v[103:104], v[44:45], s[14:15], v[46:47]
	v_add_f64_e32 v[32:33], v[40:41], v[36:37]
	v_and_b32_e32 v36, 0xffff, v210
	s_delay_alu instid0(VALU_DEP_1) | instskip(NEXT) | instid1(VALU_DEP_4)
	v_lshl_add_u32 v36, v36, 4, v209
	v_add_f64_e32 v[85:86], v[103:104], v[85:86]
	ds_store_b128 v36, v[56:59] offset:32
	ds_store_b128 v36, v[60:63] offset:48
	;; [unrolled: 1-line block ×11, first 2 shown]
	ds_store_b128 v36, v[0:3]
	ds_store_b128 v36, v[32:35] offset:192
.LBB0_13:
	s_or_b32 exec_lo, exec_lo, s33
	global_wb scope:SCOPE_SE
	s_wait_dscnt 0x0
	s_barrier_signal -1
	s_barrier_wait -1
	global_inv scope:SCOPE_SE
	ds_load_b128 v[0:3], v73 offset:208
	ds_load_b128 v[20:23], v73 offset:416
	;; [unrolled: 1-line block ×4, first 2 shown]
	s_mov_b32 s4, 0x134454ff
	s_mov_b32 s5, 0xbfee6f0e
	;; [unrolled: 1-line block ×3, first 2 shown]
	s_wait_alu 0xfffe
	s_mov_b32 s6, s4
	s_wait_dscnt 0x3
	v_mul_f64_e32 v[32:33], v[18:19], v[2:3]
	s_wait_dscnt 0x2
	v_mul_f64_e32 v[34:35], v[14:15], v[22:23]
	;; [unrolled: 2-line block ×3, first 2 shown]
	v_mul_f64_e32 v[14:15], v[14:15], v[20:21]
	v_mul_f64_e32 v[10:11], v[10:11], v[24:25]
	;; [unrolled: 1-line block ×3, first 2 shown]
	s_wait_dscnt 0x0
	v_mul_f64_e32 v[38:39], v[6:7], v[30:31]
	v_mul_f64_e32 v[6:7], v[6:7], v[28:29]
	v_fma_f64 v[32:33], v[16:17], v[0:1], v[32:33]
	v_fma_f64 v[20:21], v[12:13], v[20:21], v[34:35]
	;; [unrolled: 1-line block ×3, first 2 shown]
	v_fma_f64 v[12:13], v[12:13], v[22:23], -v[14:15]
	v_fma_f64 v[8:9], v[8:9], v[26:27], -v[10:11]
	v_fma_f64 v[16:17], v[16:17], v[2:3], -v[18:19]
	v_fma_f64 v[18:19], v[4:5], v[28:29], v[38:39]
	v_fma_f64 v[4:5], v[4:5], v[30:31], -v[6:7]
	ds_load_b128 v[0:3], v73
	s_wait_dscnt 0x0
	v_add_f64_e32 v[26:27], v[0:1], v[32:33]
	v_add_f64_e32 v[6:7], v[20:21], v[24:25]
	;; [unrolled: 1-line block ×6, first 2 shown]
	v_add_f64_e64 v[28:29], v[16:17], -v[4:5]
	v_add_f64_e64 v[36:37], v[32:33], -v[18:19]
	;; [unrolled: 1-line block ×9, first 2 shown]
	v_fma_f64 v[6:7], v[6:7], -0.5, v[0:1]
	v_fma_f64 v[14:15], v[14:15], -0.5, v[2:3]
	v_add_f64_e32 v[12:13], v[34:35], v[12:13]
	v_fma_f64 v[0:1], v[10:11], -0.5, v[0:1]
	v_add_f64_e64 v[10:11], v[20:21], -v[24:25]
	v_fma_f64 v[2:3], v[22:23], -0.5, v[2:3]
	v_add_f64_e64 v[22:23], v[32:33], -v[20:21]
	v_add_f64_e64 v[32:33], v[20:21], -v[32:33]
	v_add_f64_e32 v[20:21], v[26:27], v[20:21]
	v_fma_f64 v[26:27], v[28:29], s[4:5], v[6:7]
	s_wait_alu 0xfffe
	v_fma_f64 v[6:7], v[28:29], s[6:7], v[6:7]
	v_fma_f64 v[48:49], v[36:37], s[6:7], v[14:15]
	;; [unrolled: 1-line block ×7, first 2 shown]
	s_mov_b32 s4, 0x4755a5e
	s_mov_b32 s5, 0xbfe2cf23
	;; [unrolled: 1-line block ×3, first 2 shown]
	s_wait_alu 0xfffe
	s_mov_b32 s6, s4
	v_add_f64_e32 v[32:33], v[32:33], v[40:41]
	v_add_f64_e32 v[40:41], v[16:17], v[46:47]
	;; [unrolled: 1-line block ×6, first 2 shown]
	v_fma_f64 v[12:13], v[30:31], s[4:5], v[26:27]
	s_wait_alu 0xfffe
	v_fma_f64 v[6:7], v[30:31], s[6:7], v[6:7]
	v_fma_f64 v[26:27], v[10:11], s[6:7], v[48:49]
	;; [unrolled: 1-line block ×7, first 2 shown]
	s_mov_b32 s4, 0x372fe950
	s_mov_b32 s5, 0x3fd3c6ef
	v_add_f64_e32 v[0:1], v[16:17], v[18:19]
	v_add_f64_e32 v[2:3], v[8:9], v[4:5]
	s_wait_alu 0xfffe
	v_fma_f64 v[4:5], v[22:23], s[4:5], v[12:13]
	v_fma_f64 v[8:9], v[22:23], s[4:5], v[6:7]
	v_fma_f64 v[6:7], v[38:39], s[4:5], v[26:27]
	v_fma_f64 v[10:11], v[38:39], s[4:5], v[10:11]
	v_fma_f64 v[12:13], v[32:33], s[4:5], v[20:21]
	v_fma_f64 v[16:17], v[32:33], s[4:5], v[24:25]
	v_fma_f64 v[14:15], v[40:41], s[4:5], v[28:29]
	v_fma_f64 v[18:19], v[40:41], s[4:5], v[30:31]
	ds_store_b128 v72, v[0:3]
	ds_store_b128 v72, v[4:7] offset:208
	ds_store_b128 v72, v[12:15] offset:416
	;; [unrolled: 1-line block ×4, first 2 shown]
	global_wb scope:SCOPE_SE
	s_wait_dscnt 0x0
	s_barrier_signal -1
	s_barrier_wait -1
	global_inv scope:SCOPE_SE
	s_and_b32 exec_lo, exec_lo, vcc_lo
	s_cbranch_execz .LBB0_15
; %bb.14:
	s_clause 0xc
	global_load_b128 v[0:3], v208, s[12:13]
	global_load_b128 v[4:7], v208, s[12:13] offset:80
	global_load_b128 v[8:11], v208, s[12:13] offset:160
	;; [unrolled: 1-line block ×12, first 2 shown]
	v_mad_co_u64_u32 v[60:61], null, s0, v207, 0
	v_mad_co_u64_u32 v[52:53], null, s2, v84, 0
	v_lshl_add_u32 v100, v206, 4, v208
	s_mov_b32 s4, 0x1f81f820
	s_mov_b32 s5, 0x3f8f81f8
	s_delay_alu instid0(VALU_DEP_3) | instskip(NEXT) | instid1(VALU_DEP_1)
	v_mov_b32_e32 v54, v61
	v_mad_co_u64_u32 v[55:56], null, s3, v84, v[53:54]
	s_mul_u64 s[2:3], s[0:1], 0x50
	s_delay_alu instid0(VALU_DEP_1) | instskip(SKIP_1) | instid1(VALU_DEP_2)
	v_mov_b32_e32 v53, v55
	v_mad_co_u64_u32 v[56:57], null, s1, v207, v[54:55]
	v_lshlrev_b64_e32 v[62:63], 4, v[52:53]
	s_delay_alu instid0(VALU_DEP_2)
	v_mov_b32_e32 v61, v56
	ds_load_b128 v[52:55], v72
	ds_load_b128 v[56:59], v100 offset:80
	v_add_co_u32 v148, vcc_lo, s8, v62
	v_add_co_ci_u32_e32 v149, vcc_lo, s9, v63, vcc_lo
	v_lshlrev_b64_e32 v[68:69], 4, v[60:61]
	ds_load_b128 v[60:63], v100 offset:160
	ds_load_b128 v[64:67], v100 offset:240
	v_add_co_u32 v104, vcc_lo, v148, v68
	s_wait_alu 0xfffd
	v_add_co_ci_u32_e32 v105, vcc_lo, v149, v69, vcc_lo
	ds_load_b128 v[68:71], v100 offset:320
	ds_load_b128 v[72:75], v100 offset:400
	;; [unrolled: 1-line block ×9, first 2 shown]
	s_wait_alu 0xfffe
	v_add_co_u32 v106, vcc_lo, v104, s2
	s_wait_alu 0xfffd
	v_add_co_ci_u32_e32 v107, vcc_lo, s3, v105, vcc_lo
	s_delay_alu instid0(VALU_DEP_2) | instskip(SKIP_1) | instid1(VALU_DEP_2)
	v_add_co_u32 v108, vcc_lo, v106, s2
	s_wait_alu 0xfffd
	v_add_co_ci_u32_e32 v109, vcc_lo, s3, v107, vcc_lo
	s_delay_alu instid0(VALU_DEP_2) | instskip(SKIP_1) | instid1(VALU_DEP_2)
	;; [unrolled: 4-line block ×6, first 2 shown]
	v_add_co_u32 v144, vcc_lo, v142, s2
	s_wait_alu 0xfffd
	v_add_co_ci_u32_e32 v145, vcc_lo, s3, v143, vcc_lo
	s_delay_alu instid0(VALU_DEP_1)
	v_mad_co_u64_u32 v[146:147], null, 0xa0, s0, v[144:145]
	s_wait_loadcnt_dscnt 0xc0c
	v_mul_f64_e32 v[116:117], v[54:55], v[2:3]
	v_mul_f64_e32 v[2:3], v[52:53], v[2:3]
	s_wait_loadcnt_dscnt 0xb0b
	v_mul_f64_e32 v[118:119], v[58:59], v[6:7]
	v_mul_f64_e32 v[6:7], v[56:57], v[6:7]
	;; [unrolled: 3-line block ×13, first 2 shown]
	v_fma_f64 v[52:53], v[52:53], v[0:1], v[116:117]
	v_fma_f64 v[2:3], v[0:1], v[54:55], -v[2:3]
	v_mov_b32_e32 v0, v147
	v_fma_f64 v[54:55], v[56:57], v[4:5], v[118:119]
	v_fma_f64 v[6:7], v[4:5], v[58:59], -v[6:7]
	v_fma_f64 v[56:57], v[60:61], v[8:9], v[120:121]
	v_fma_f64 v[10:11], v[8:9], v[62:63], -v[10:11]
	;; [unrolled: 2-line block ×12, first 2 shown]
	v_mad_co_u64_u32 v[80:81], null, 0xa0, s1, v[0:1]
	v_mad_co_u64_u32 v[78:79], null, s0, v205, 0
	s_delay_alu instid0(VALU_DEP_2) | instskip(SKIP_2) | instid1(VALU_DEP_4)
	v_mov_b32_e32 v147, v80
	v_mul_f64_e32 v[0:1], s[4:5], v[52:53]
	v_mul_f64_e32 v[2:3], s[4:5], v[2:3]
	v_mad_co_u64_u32 v[52:53], null, s1, v205, v[79:80]
	v_mul_f64_e32 v[4:5], s[4:5], v[54:55]
	v_mul_f64_e32 v[6:7], s[4:5], v[6:7]
	;; [unrolled: 1-line block ×24, first 2 shown]
	v_mov_b32_e32 v79, v52
	v_add_co_u32 v52, vcc_lo, v146, s2
	s_wait_alu 0xfffd
	v_add_co_ci_u32_e32 v53, vcc_lo, s3, v147, vcc_lo
	s_delay_alu instid0(VALU_DEP_3) | instskip(NEXT) | instid1(VALU_DEP_3)
	v_lshlrev_b64_e32 v[54:55], 4, v[78:79]
	v_add_co_u32 v56, vcc_lo, v52, s2
	s_wait_alu 0xfffd
	s_delay_alu instid0(VALU_DEP_3) | instskip(NEXT) | instid1(VALU_DEP_3)
	v_add_co_ci_u32_e32 v57, vcc_lo, s3, v53, vcc_lo
	v_add_co_u32 v54, vcc_lo, v148, v54
	s_wait_alu 0xfffd
	v_add_co_ci_u32_e32 v55, vcc_lo, v149, v55, vcc_lo
	v_add_co_u32 v58, vcc_lo, v56, s2
	s_wait_alu 0xfffd
	v_add_co_ci_u32_e32 v59, vcc_lo, s3, v57, vcc_lo
	s_clause 0x4
	global_store_b128 v[104:105], v[0:3], off
	global_store_b128 v[106:107], v[4:7], off
	;; [unrolled: 1-line block ×13, first 2 shown]
.LBB0_15:
	s_nop 0
	s_sendmsg sendmsg(MSG_DEALLOC_VGPRS)
	s_endpgm
	.section	.rodata,"a",@progbits
	.p2align	6, 0x0
	.amdhsa_kernel bluestein_single_back_len65_dim1_dp_op_CI_CI
		.amdhsa_group_segment_fixed_size 19760
		.amdhsa_private_segment_fixed_size 0
		.amdhsa_kernarg_size 104
		.amdhsa_user_sgpr_count 2
		.amdhsa_user_sgpr_dispatch_ptr 0
		.amdhsa_user_sgpr_queue_ptr 0
		.amdhsa_user_sgpr_kernarg_segment_ptr 1
		.amdhsa_user_sgpr_dispatch_id 0
		.amdhsa_user_sgpr_private_segment_size 0
		.amdhsa_wavefront_size32 1
		.amdhsa_uses_dynamic_stack 0
		.amdhsa_enable_private_segment 0
		.amdhsa_system_sgpr_workgroup_id_x 1
		.amdhsa_system_sgpr_workgroup_id_y 0
		.amdhsa_system_sgpr_workgroup_id_z 0
		.amdhsa_system_sgpr_workgroup_info 0
		.amdhsa_system_vgpr_workitem_id 0
		.amdhsa_next_free_vgpr 252
		.amdhsa_next_free_sgpr 44
		.amdhsa_reserve_vcc 1
		.amdhsa_float_round_mode_32 0
		.amdhsa_float_round_mode_16_64 0
		.amdhsa_float_denorm_mode_32 3
		.amdhsa_float_denorm_mode_16_64 3
		.amdhsa_fp16_overflow 0
		.amdhsa_workgroup_processor_mode 1
		.amdhsa_memory_ordered 1
		.amdhsa_forward_progress 0
		.amdhsa_round_robin_scheduling 0
		.amdhsa_exception_fp_ieee_invalid_op 0
		.amdhsa_exception_fp_denorm_src 0
		.amdhsa_exception_fp_ieee_div_zero 0
		.amdhsa_exception_fp_ieee_overflow 0
		.amdhsa_exception_fp_ieee_underflow 0
		.amdhsa_exception_fp_ieee_inexact 0
		.amdhsa_exception_int_div_zero 0
	.end_amdhsa_kernel
	.text
.Lfunc_end0:
	.size	bluestein_single_back_len65_dim1_dp_op_CI_CI, .Lfunc_end0-bluestein_single_back_len65_dim1_dp_op_CI_CI
                                        ; -- End function
	.section	.AMDGPU.csdata,"",@progbits
; Kernel info:
; codeLenInByte = 11168
; NumSgprs: 46
; NumVgprs: 252
; ScratchSize: 0
; MemoryBound: 0
; FloatMode: 240
; IeeeMode: 1
; LDSByteSize: 19760 bytes/workgroup (compile time only)
; SGPRBlocks: 5
; VGPRBlocks: 31
; NumSGPRsForWavesPerEU: 46
; NumVGPRsForWavesPerEU: 252
; Occupancy: 5
; WaveLimiterHint : 1
; COMPUTE_PGM_RSRC2:SCRATCH_EN: 0
; COMPUTE_PGM_RSRC2:USER_SGPR: 2
; COMPUTE_PGM_RSRC2:TRAP_HANDLER: 0
; COMPUTE_PGM_RSRC2:TGID_X_EN: 1
; COMPUTE_PGM_RSRC2:TGID_Y_EN: 0
; COMPUTE_PGM_RSRC2:TGID_Z_EN: 0
; COMPUTE_PGM_RSRC2:TIDIG_COMP_CNT: 0
	.text
	.p2alignl 7, 3214868480
	.fill 96, 4, 3214868480
	.type	__hip_cuid_ee5b967af79e84eb,@object ; @__hip_cuid_ee5b967af79e84eb
	.section	.bss,"aw",@nobits
	.globl	__hip_cuid_ee5b967af79e84eb
__hip_cuid_ee5b967af79e84eb:
	.byte	0                               ; 0x0
	.size	__hip_cuid_ee5b967af79e84eb, 1

	.ident	"AMD clang version 19.0.0git (https://github.com/RadeonOpenCompute/llvm-project roc-6.4.0 25133 c7fe45cf4b819c5991fe208aaa96edf142730f1d)"
	.section	".note.GNU-stack","",@progbits
	.addrsig
	.addrsig_sym __hip_cuid_ee5b967af79e84eb
	.amdgpu_metadata
---
amdhsa.kernels:
  - .args:
      - .actual_access:  read_only
        .address_space:  global
        .offset:         0
        .size:           8
        .value_kind:     global_buffer
      - .actual_access:  read_only
        .address_space:  global
        .offset:         8
        .size:           8
        .value_kind:     global_buffer
      - .actual_access:  read_only
        .address_space:  global
        .offset:         16
        .size:           8
        .value_kind:     global_buffer
      - .actual_access:  read_only
        .address_space:  global
        .offset:         24
        .size:           8
        .value_kind:     global_buffer
      - .actual_access:  read_only
        .address_space:  global
        .offset:         32
        .size:           8
        .value_kind:     global_buffer
      - .offset:         40
        .size:           8
        .value_kind:     by_value
      - .address_space:  global
        .offset:         48
        .size:           8
        .value_kind:     global_buffer
      - .address_space:  global
        .offset:         56
        .size:           8
        .value_kind:     global_buffer
      - .address_space:  global
        .offset:         64
        .size:           8
        .value_kind:     global_buffer
      - .address_space:  global
        .offset:         72
        .size:           8
        .value_kind:     global_buffer
      - .offset:         80
        .size:           4
        .value_kind:     by_value
      - .address_space:  global
        .offset:         88
        .size:           8
        .value_kind:     global_buffer
      - .address_space:  global
        .offset:         96
        .size:           8
        .value_kind:     global_buffer
    .group_segment_fixed_size: 19760
    .kernarg_segment_align: 8
    .kernarg_segment_size: 104
    .language:       OpenCL C
    .language_version:
      - 2
      - 0
    .max_flat_workgroup_size: 247
    .name:           bluestein_single_back_len65_dim1_dp_op_CI_CI
    .private_segment_fixed_size: 0
    .sgpr_count:     46
    .sgpr_spill_count: 0
    .symbol:         bluestein_single_back_len65_dim1_dp_op_CI_CI.kd
    .uniform_work_group_size: 1
    .uses_dynamic_stack: false
    .vgpr_count:     252
    .vgpr_spill_count: 0
    .wavefront_size: 32
    .workgroup_processor_mode: 1
amdhsa.target:   amdgcn-amd-amdhsa--gfx1201
amdhsa.version:
  - 1
  - 2
...

	.end_amdgpu_metadata
